;; amdgpu-corpus repo=ROCm/rocFFT kind=compiled arch=gfx1201 opt=O3
	.text
	.amdgcn_target "amdgcn-amd-amdhsa--gfx1201"
	.amdhsa_code_object_version 6
	.protected	bluestein_single_back_len1960_dim1_half_op_CI_CI ; -- Begin function bluestein_single_back_len1960_dim1_half_op_CI_CI
	.globl	bluestein_single_back_len1960_dim1_half_op_CI_CI
	.p2align	8
	.type	bluestein_single_back_len1960_dim1_half_op_CI_CI,@function
bluestein_single_back_len1960_dim1_half_op_CI_CI: ; @bluestein_single_back_len1960_dim1_half_op_CI_CI
; %bb.0:
	s_load_b128 s[12:15], s[0:1], 0x28
	v_mul_u32_u24_e32 v1, 0x493, v0
	s_mov_b32 s2, exec_lo
	v_mov_b32_e32 v53, 0
	s_delay_alu instid0(VALU_DEP_2) | instskip(NEXT) | instid1(VALU_DEP_1)
	v_lshrrev_b32_e32 v1, 16, v1
	v_add_nc_u32_e32 v52, ttmp9, v1
	s_wait_kmcnt 0x0
	s_delay_alu instid0(VALU_DEP_1)
	v_cmpx_gt_u64_e64 s[12:13], v[52:53]
	s_cbranch_execz .LBB0_25
; %bb.1:
	s_clause 0x1
	s_load_b128 s[4:7], s[0:1], 0x18
	s_load_b64 s[12:13], s[0:1], 0x0
	v_mul_lo_u16 v1, v1, 56
	s_delay_alu instid0(VALU_DEP_1) | instskip(NEXT) | instid1(VALU_DEP_1)
	v_sub_nc_u16 v0, v0, v1
	v_and_b32_e32 v150, 0xffff, v0
	s_wait_kmcnt 0x0
	s_load_b128 s[8:11], s[4:5], 0x0
	s_wait_kmcnt 0x0
	v_mad_co_u64_u32 v[0:1], null, s10, v52, 0
	v_mad_co_u64_u32 v[2:3], null, s8, v150, 0
	s_mul_u64 s[2:3], s[8:9], 0x1ea
	s_delay_alu instid0(VALU_DEP_1) | instskip(SKIP_1) | instid1(VALU_DEP_1)
	v_mad_co_u64_u32 v[4:5], null, s11, v52, v[1:2]
	s_load_b64 s[10:11], s[0:1], 0x38
	v_mov_b32_e32 v1, v4
	s_delay_alu instid0(VALU_DEP_3) | instskip(SKIP_2) | instid1(VALU_DEP_4)
	v_mad_co_u64_u32 v[5:6], null, s9, v150, v[3:4]
	v_lshlrev_b32_e32 v96, 2, v150
	v_or_b32_e32 v50, 0x1c0, v150
	v_lshlrev_b64_e32 v[0:1], 2, v[0:1]
	s_delay_alu instid0(VALU_DEP_4)
	v_mov_b32_e32 v3, v5
	s_clause 0x1f
	global_load_b32 v153, v96, s[12:13]
	global_load_b32 v146, v96, s[12:13] offset:224
	global_load_b32 v138, v96, s[12:13] offset:448
	;; [unrolled: 1-line block ×31, first 2 shown]
	v_lshlrev_b64_e32 v[4:5], 2, v[2:3]
	v_add_co_u32 v2, vcc_lo, s14, v0
	v_add_co_ci_u32_e32 v3, vcc_lo, s15, v1, vcc_lo
	s_lshl_b64 s[14:15], s[2:3], 2
	s_delay_alu instid0(VALU_DEP_2) | instskip(SKIP_1) | instid1(VALU_DEP_2)
	v_add_co_u32 v0, vcc_lo, v2, v4
	s_wait_alu 0xfffd
	v_add_co_ci_u32_e32 v1, vcc_lo, v3, v5, vcc_lo
	s_movk_i32 s2, 0xe9e8
	s_wait_alu 0xfffe
	v_add_co_u32 v4, vcc_lo, v0, s14
	s_wait_alu 0xfffd
	v_add_co_ci_u32_e32 v5, vcc_lo, s15, v1, vcc_lo
	global_load_b32 v8, v[0:1], off
	s_mov_b32 s3, -1
	v_add_nc_u32_e32 v19, 0x1000, v96
	global_load_b32 v9, v[4:5], off
	v_add_co_u32 v0, vcc_lo, v4, s14
	s_wait_alu 0xfffd
	v_add_co_ci_u32_e32 v1, vcc_lo, s15, v5, vcc_lo
	s_mul_u64 s[2:3], s[8:9], s[2:3]
	s_delay_alu instid0(VALU_DEP_2) | instskip(SKIP_1) | instid1(VALU_DEP_2)
	v_add_co_u32 v4, vcc_lo, v0, s14
	s_wait_alu 0xfffd
	v_add_co_ci_u32_e32 v5, vcc_lo, s15, v1, vcc_lo
	global_load_b32 v10, v[0:1], off
	v_add_nc_u32_e32 v42, 0x1600, v96
	v_add_nc_u32_e32 v17, 0x1800, v96
	global_load_b32 v11, v[4:5], off
	v_add_co_u32 v0, vcc_lo, v4, s2
	s_wait_alu 0xfffd
	v_add_co_ci_u32_e32 v1, vcc_lo, s3, v5, vcc_lo
	v_add_nc_u32_e32 v16, 0xc00, v96
	s_delay_alu instid0(VALU_DEP_3) | instskip(SKIP_1) | instid1(VALU_DEP_3)
	v_add_co_u32 v4, vcc_lo, v0, s14
	s_wait_alu 0xfffd
	v_add_co_ci_u32_e32 v5, vcc_lo, s15, v1, vcc_lo
	global_load_b32 v12, v[0:1], off
	v_add_co_u32 v0, vcc_lo, v4, s14
	s_wait_alu 0xfffd
	v_add_co_ci_u32_e32 v1, vcc_lo, s15, v5, vcc_lo
	global_load_b32 v13, v[4:5], off
	global_load_b32 v14, v[0:1], off
	v_add_co_u32 v0, vcc_lo, v0, s14
	s_wait_alu 0xfffd
	v_add_co_ci_u32_e32 v1, vcc_lo, s15, v1, vcc_lo
	v_add_nc_u32_e32 v43, 0x1200, v96
	v_add_nc_u32_e32 v44, 0x1a00, v96
	;; [unrolled: 1-line block ×3, first 2 shown]
	global_load_b32 v15, v[0:1], off
	v_add_co_u32 v0, vcc_lo, v0, s2
	s_wait_alu 0xfffd
	v_add_co_ci_u32_e32 v1, vcc_lo, s3, v1, vcc_lo
	s_delay_alu instid0(VALU_DEP_2) | instskip(SKIP_1) | instid1(VALU_DEP_2)
	v_add_co_u32 v4, vcc_lo, v0, s14
	s_wait_alu 0xfffd
	v_add_co_ci_u32_e32 v5, vcc_lo, s15, v1, vcc_lo
	global_load_b32 v20, v[0:1], off
	v_add_co_u32 v0, vcc_lo, v4, s14
	s_wait_alu 0xfffd
	v_add_co_ci_u32_e32 v1, vcc_lo, s15, v5, vcc_lo
	global_load_b32 v21, v[4:5], off
	v_add_co_u32 v4, vcc_lo, v0, s14
	s_wait_alu 0xfffd
	v_add_co_ci_u32_e32 v5, vcc_lo, s15, v1, vcc_lo
	global_load_b32 v22, v[0:1], off
	global_load_b32 v23, v[4:5], off
	v_add_co_u32 v0, vcc_lo, v4, s2
	s_wait_alu 0xfffd
	v_add_co_ci_u32_e32 v1, vcc_lo, s3, v5, vcc_lo
	s_delay_alu instid0(VALU_DEP_2) | instskip(SKIP_1) | instid1(VALU_DEP_2)
	v_add_co_u32 v4, vcc_lo, v0, s14
	s_wait_alu 0xfffd
	v_add_co_ci_u32_e32 v5, vcc_lo, s15, v1, vcc_lo
	global_load_b32 v24, v[0:1], off
	global_load_b32 v25, v[4:5], off
	v_add_co_u32 v0, vcc_lo, v4, s14
	s_wait_alu 0xfffd
	v_add_co_ci_u32_e32 v1, vcc_lo, s15, v5, vcc_lo
	s_delay_alu instid0(VALU_DEP_2) | instskip(SKIP_1) | instid1(VALU_DEP_2)
	v_add_co_u32 v4, vcc_lo, v0, s14
	s_wait_alu 0xfffd
	v_add_co_ci_u32_e32 v5, vcc_lo, s15, v1, vcc_lo
	global_load_b32 v26, v[0:1], off
	;; [unrolled: 9-line block ×3, first 2 shown]
	v_add_co_u32 v0, vcc_lo, v4, s14
	s_wait_alu 0xfffd
	v_add_co_ci_u32_e32 v1, vcc_lo, s15, v5, vcc_lo
	global_load_b32 v29, v[4:5], off
	v_add_co_u32 v4, vcc_lo, v0, s14
	s_wait_alu 0xfffd
	v_add_co_ci_u32_e32 v5, vcc_lo, s15, v1, vcc_lo
	global_load_b32 v30, v[0:1], off
	global_load_b32 v31, v[4:5], off
	v_add_co_u32 v0, vcc_lo, v4, s2
	s_wait_alu 0xfffd
	v_add_co_ci_u32_e32 v1, vcc_lo, s3, v5, vcc_lo
	s_delay_alu instid0(VALU_DEP_2) | instskip(SKIP_1) | instid1(VALU_DEP_2)
	v_add_co_u32 v4, vcc_lo, v0, s14
	s_wait_alu 0xfffd
	v_add_co_ci_u32_e32 v5, vcc_lo, s15, v1, vcc_lo
	global_load_b32 v32, v[0:1], off
	global_load_b32 v33, v[4:5], off
	v_add_co_u32 v0, vcc_lo, v4, s14
	s_wait_alu 0xfffd
	v_add_co_ci_u32_e32 v1, vcc_lo, s15, v5, vcc_lo
	s_delay_alu instid0(VALU_DEP_2) | instskip(SKIP_1) | instid1(VALU_DEP_2)
	;; [unrolled: 9-line block ×3, first 2 shown]
	v_add_co_u32 v4, vcc_lo, v0, s14
	s_wait_alu 0xfffd
	v_add_co_ci_u32_e32 v5, vcc_lo, s15, v1, vcc_lo
	global_load_b32 v36, v[0:1], off
	v_add_co_u32 v0, vcc_lo, v4, s14
	s_wait_alu 0xfffd
	v_add_co_ci_u32_e32 v1, vcc_lo, s15, v5, vcc_lo
	global_load_b32 v37, v[4:5], off
	;; [unrolled: 4-line block ×3, first 2 shown]
	global_load_b32 v39, v[4:5], off
	v_add_co_u32 v0, vcc_lo, v4, s2
	s_wait_alu 0xfffd
	v_add_co_ci_u32_e32 v1, vcc_lo, s3, v5, vcc_lo
	s_mov_b32 s2, 0
	s_delay_alu instid0(VALU_DEP_2) | instskip(SKIP_1) | instid1(VALU_DEP_2)
	v_add_co_u32 v4, vcc_lo, v0, s14
	s_wait_alu 0xfffd
	v_add_co_ci_u32_e32 v5, vcc_lo, s15, v1, vcc_lo
	global_load_b32 v40, v[0:1], off
	v_add_co_u32 v6, vcc_lo, v4, s14
	s_wait_alu 0xfffd
	v_add_co_ci_u32_e32 v7, vcc_lo, s15, v5, vcc_lo
	global_load_b32 v41, v[4:5], off
	;; [unrolled: 4-line block ×3, first 2 shown]
	global_load_b32 v7, v[0:1], off
	s_load_b128 s[4:7], s[6:7], 0x0
	v_dual_mov_b32 v51, s2 :: v_dual_add_nc_u32 v4, 0x800, v96
	v_add_nc_u32_e32 v5, 0x200, v96
	v_add_co_u32 v48, s2, s12, v96
	s_wait_alu 0xf1ff
	v_add_co_ci_u32_e64 v49, null, s13, 0, s2
	v_cmp_lt_u64_e64 s2, 0x1e9, v[50:51]
	v_cmp_gt_u64_e32 vcc_lo, 0x1ea, v[50:51]
	s_wait_loadcnt 0x3e
	v_lshrrev_b32_e32 v47, 16, v153
	s_wait_loadcnt 0x37
	v_lshrrev_b32_e32 v86, 16, v158
	;; [unrolled: 2-line block ×3, first 2 shown]
	v_lshrrev_b32_e32 v55, 16, v146
	v_lshrrev_b32_e32 v83, 16, v149
	s_wait_loadcnt 0x2e
	v_lshrrev_b32_e32 v82, 16, v147
	s_wait_loadcnt 0x26
	v_lshrrev_b32_e32 v81, 16, v144
	v_lshrrev_b32_e32 v80, 16, v138
	;; [unrolled: 1-line block ×5, first 2 shown]
	s_wait_loadcnt 0x25
	v_lshrrev_b32_e32 v77, 16, v136
	v_lshrrev_b32_e32 v76, 16, v132
	v_lshrrev_b32_e32 v75, 16, v133
	v_lshrrev_b32_e32 v74, 16, v130
	s_wait_loadcnt 0x24
	v_lshrrev_b32_e32 v73, 16, v128
	v_lshrrev_b32_e32 v72, 16, v124
	v_lshrrev_b32_e32 v71, 16, v125
	v_lshrrev_b32_e32 v70, 16, v122
	;; [unrolled: 5-line block ×3, first 2 shown]
	s_wait_loadcnt 0x22
	v_lshrrev_b32_e32 v65, 16, v112
	v_lshrrev_b32_e32 v64, 16, v110
	;; [unrolled: 1-line block ×3, first 2 shown]
	s_wait_loadcnt 0x1f
	v_lshrrev_b32_e32 v45, 16, v8
	v_mul_f16_e32 v46, v47, v8
	v_lshrrev_b32_e32 v62, 16, v106
	s_wait_loadcnt 0x1e
	v_lshrrev_b32_e32 v53, 16, v9
	v_mul_f16_e32 v54, v86, v9
	v_mul_f16_e32 v47, v47, v45
	v_fma_f16 v45, v153, v45, -v46
	v_lshrrev_b32_e32 v61, 16, v104
	v_lshrrev_b32_e32 v60, 16, v102
	;; [unrolled: 1-line block ×3, first 2 shown]
	v_fmac_f16_e64 v47, v153, v8
	v_mul_f16_e32 v8, v86, v53
	v_fma_f16 v53, v158, v53, -v54
	s_wait_loadcnt 0x1d
	v_lshrrev_b32_e32 v46, 16, v10
	v_mul_f16_e32 v54, v85, v10
	v_pack_b32_f16 v45, v47, v45
	v_fmac_f16_e64 v8, v158, v9
	s_wait_loadcnt 0x1c
	v_lshrrev_b32_e32 v47, 16, v11
	v_mul_f16_e32 v9, v85, v46
	v_fma_f16 v46, v156, v46, -v54
	v_mul_f16_e32 v54, v84, v11
	v_pack_b32_f16 v8, v8, v53
	v_lshrrev_b32_e32 v58, 16, v98
	v_fmac_f16_e64 v9, v156, v10
	v_mul_f16_e32 v10, v84, v47
	v_fma_f16 v47, v154, v47, -v54
	s_wait_loadcnt 0x1b
	v_lshrrev_b32_e32 v53, 16, v12
	v_mul_f16_e32 v54, v55, v12
	v_pack_b32_f16 v9, v9, v46
	v_fmac_f16_e64 v10, v154, v11
	v_lshrrev_b32_e32 v57, 16, v56
	v_mul_f16_e32 v11, v55, v53
	s_wait_loadcnt 0x1a
	v_lshrrev_b32_e32 v46, 16, v13
	v_mul_f16_e32 v55, v83, v13
	v_fma_f16 v53, v146, v53, -v54
	v_pack_b32_f16 v10, v10, v47
	v_fmac_f16_e64 v11, v146, v12
	v_mul_f16_e32 v12, v83, v46
	s_wait_loadcnt 0x19
	v_lshrrev_b32_e32 v47, 16, v14
	v_fma_f16 v46, v149, v46, -v55
	v_mul_f16_e32 v54, v82, v14
	ds_store_b32 v96, v8 offset:1960
	ds_store_b32 v96, v9 offset:3920
	;; [unrolled: 1-line block ×3, first 2 shown]
	v_pack_b32_f16 v8, v11, v53
	v_fmac_f16_e64 v12, v149, v13
	v_mul_f16_e32 v9, v82, v47
	s_wait_loadcnt 0x18
	v_lshrrev_b32_e32 v11, 16, v15
	v_fma_f16 v10, v147, v47, -v54
	v_mul_f16_e32 v13, v81, v15
	ds_store_2addr_b32 v96, v45, v8 offset1:56
	v_pack_b32_f16 v8, v12, v46
	v_fmac_f16_e64 v9, v147, v14
	v_mul_f16_e32 v12, v81, v11
	s_wait_loadcnt 0x17
	v_lshrrev_b32_e32 v14, 16, v20
	v_fma_f16 v11, v144, v11, -v13
	v_mul_f16_e32 v13, v80, v20
	v_pack_b32_f16 v9, v9, v10
	v_fmac_f16_e64 v12, v144, v15
	v_mul_f16_e32 v10, v80, v14
	s_wait_loadcnt 0x16
	v_lshrrev_b32_e32 v15, 16, v21
	v_fma_f16 v13, v138, v14, -v13
	v_mul_f16_e32 v14, v79, v21
	;; [unrolled: 7-line block ×3, first 2 shown]
	v_pack_b32_f16 v10, v10, v13
	v_fmac_f16_e64 v12, v141, v21
	v_mul_f16_e32 v13, v78, v20
	s_wait_loadcnt 0x14
	v_lshrrev_b32_e32 v21, 16, v23
	v_mul_f16_e32 v45, v77, v23
	v_fma_f16 v15, v139, v20, -v15
	v_pack_b32_f16 v12, v12, v14
	v_fmac_f16_e64 v13, v139, v22
	v_mul_f16_e32 v14, v77, v21
	v_fma_f16 v20, v136, v21, -v45
	s_wait_loadcnt 0x13
	v_lshrrev_b32_e32 v21, 16, v24
	v_mul_f16_e32 v22, v76, v24
	ds_store_2addr_b32 v4, v8, v12 offset0:34 offset1:90
	v_pack_b32_f16 v8, v13, v15
	v_fmac_f16_e64 v14, v136, v23
	v_mul_f16_e32 v12, v76, v21
	v_fma_f16 v13, v132, v21, -v22
	s_wait_loadcnt 0x12
	v_lshrrev_b32_e32 v15, 16, v25
	v_mul_f16_e32 v21, v75, v25
	ds_store_2addr_b32 v19, v9, v8 offset0:12 offset1:68
	v_pack_b32_f16 v8, v14, v20
	v_fmac_f16_e64 v12, v132, v24
	v_mul_f16_e32 v9, v75, v15
	v_fma_f16 v14, v133, v15, -v21
	s_wait_loadcnt 0x11
	v_lshrrev_b32_e32 v15, 16, v26
	v_mul_f16_e32 v20, v74, v26
	ds_store_2addr_b32 v42, v11, v8 offset0:118 offset1:174
	v_pack_b32_f16 v8, v12, v13
	v_fmac_f16_e64 v9, v133, v25
	v_mul_f16_e32 v11, v74, v15
	s_wait_loadcnt 0x10
	v_lshrrev_b32_e32 v13, 16, v27
	v_fma_f16 v12, v130, v15, -v20
	v_mul_f16_e32 v15, v73, v27
	ds_store_2addr_b32 v96, v10, v8 offset0:112 offset1:168
	v_pack_b32_f16 v8, v9, v14
	v_fmac_f16_e64 v11, v130, v26
	v_mul_f16_e32 v9, v73, v13
	s_wait_loadcnt 0xf
	v_lshrrev_b32_e32 v10, 16, v28
	v_fma_f16 v13, v128, v13, -v15
	v_mul_f16_e32 v14, v72, v28
	v_pack_b32_f16 v11, v11, v12
	v_fmac_f16_e64 v9, v128, v27
	v_mul_f16_e32 v12, v72, v10
	s_wait_loadcnt 0xe
	v_lshrrev_b32_e32 v15, 16, v29
	v_fma_f16 v10, v124, v10, -v14
	v_mul_f16_e32 v14, v71, v29
	v_pack_b32_f16 v9, v9, v13
	v_fmac_f16_e32 v12, v124, v28
	v_mul_f16_e32 v13, v71, v15
	s_wait_loadcnt 0xd
	v_lshrrev_b32_e32 v20, 16, v30
	v_fma_f16 v14, v125, v15, -v14
	v_mul_f16_e32 v15, v70, v30
	v_pack_b32_f16 v10, v12, v10
	v_fmac_f16_e32 v13, v125, v29
	v_mul_f16_e32 v12, v70, v20
	s_wait_loadcnt 0xc
	v_lshrrev_b32_e32 v21, 16, v31
	v_mul_f16_e32 v22, v69, v31
	v_fma_f16 v15, v122, v20, -v15
	v_pack_b32_f16 v13, v13, v14
	v_fmac_f16_e32 v12, v122, v30
	v_mul_f16_e32 v14, v69, v21
	v_fma_f16 v20, v120, v21, -v22
	s_wait_loadcnt 0xb
	v_lshrrev_b32_e32 v21, 16, v32
	v_mul_f16_e32 v22, v68, v32
	ds_store_2addr_b32 v4, v8, v13 offset0:146 offset1:202
	v_pack_b32_f16 v8, v12, v15
	v_fmac_f16_e32 v14, v120, v31
	v_mul_f16_e32 v12, v68, v21
	v_fma_f16 v13, v117, v21, -v22
	s_wait_loadcnt 0xa
	v_lshrrev_b32_e32 v15, 16, v33
	v_mul_f16_e32 v21, v67, v33
	ds_store_2addr_b32 v19, v11, v8 offset0:124 offset1:180
	;; [unrolled: 8-line block ×3, first 2 shown]
	v_pack_b32_f16 v8, v12, v13
	v_fmac_f16_e32 v11, v116, v33
	v_mul_f16_e32 v9, v66, v15
	s_wait_loadcnt 0x8
	v_lshrrev_b32_e32 v13, 16, v35
	v_fma_f16 v12, v114, v15, -v20
	v_mul_f16_e32 v15, v65, v35
	ds_store_2addr_b32 v5, v10, v8 offset0:96 offset1:152
	v_pack_b32_f16 v8, v11, v14
	v_fmac_f16_e32 v9, v114, v34
	v_mul_f16_e32 v10, v65, v13
	s_wait_loadcnt 0x7
	v_lshrrev_b32_e32 v11, 16, v36
	v_fma_f16 v13, v112, v13, -v15
	v_mul_f16_e32 v14, v64, v36
	v_pack_b32_f16 v9, v9, v12
	v_fmac_f16_e32 v10, v112, v35
	v_mul_f16_e32 v12, v64, v11
	s_wait_loadcnt 0x6
	v_lshrrev_b32_e32 v15, 16, v37
	v_fma_f16 v11, v110, v11, -v14
	v_mul_f16_e32 v14, v63, v37
	;; [unrolled: 7-line block ×3, first 2 shown]
	v_pack_b32_f16 v11, v12, v11
	v_fmac_f16_e32 v13, v108, v37
	v_mul_f16_e32 v12, v62, v20
	s_wait_loadcnt 0x4
	v_lshrrev_b32_e32 v21, 16, v39
	v_mul_f16_e32 v22, v61, v39
	v_fma_f16 v15, v106, v20, -v15
	v_pack_b32_f16 v13, v13, v14
	v_fmac_f16_e32 v12, v106, v38
	v_mul_f16_e32 v14, v61, v21
	v_fma_f16 v20, v104, v21, -v22
	s_wait_loadcnt 0x3
	v_lshrrev_b32_e32 v21, 16, v40
	v_mul_f16_e32 v22, v60, v40
	ds_store_2addr_b32 v16, v8, v13 offset0:2 offset1:58
	v_pack_b32_f16 v8, v12, v15
	s_wait_loadcnt 0x2
	v_lshrrev_b32_e32 v15, 16, v41
	v_mul_f16_e32 v12, v60, v21
	v_fma_f16 v13, v102, v21, -v22
	v_mul_f16_e32 v21, v59, v41
	ds_store_2addr_b32 v43, v9, v8 offset0:108 offset1:164
	s_wait_loadcnt 0x1
	v_lshrrev_b32_e32 v8, 16, v6
	s_wait_loadcnt 0x0
	v_lshrrev_b32_e32 v22, 16, v7
	v_mul_f16_e32 v9, v59, v15
	v_fma_f16 v15, v100, v15, -v21
	v_mul_f16_e32 v21, v58, v6
	v_mul_f16_e32 v23, v58, v8
	;; [unrolled: 1-line block ×4, first 2 shown]
	v_fmac_f16_e32 v14, v104, v39
	v_fmac_f16_e32 v12, v102, v40
	;; [unrolled: 1-line block ×3, first 2 shown]
	v_fma_f16 v8, v98, v8, -v21
	v_fmac_f16_e32 v23, v98, v6
	v_fma_f16 v6, v56, v22, -v24
	v_fmac_f16_e32 v25, v56, v7
	v_pack_b32_f16 v7, v14, v20
	v_pack_b32_f16 v12, v12, v13
	;; [unrolled: 1-line block ×5, first 2 shown]
	s_clause 0x1
	scratch_store_b32 off, v57, off offset:4
	scratch_store_b32 off, v56, off
	ds_store_2addr_b32 v44, v10, v7 offset0:86 offset1:142
	ds_store_2addr_b32 v18, v11, v12 offset0:80 offset1:136
	ds_store_b32 v96, v9 offset:3528
	ds_store_b32 v96, v8 offset:5488
	;; [unrolled: 1-line block ×3, first 2 shown]
	s_and_saveexec_b32 s16, vcc_lo
	s_cbranch_execz .LBB0_3
; %bb.2:
	v_mad_co_u64_u32 v[6:7], null, s8, v50, 0
	v_mad_co_u64_u32 v[0:1], null, 0xfffff190, s8, v[0:1]
	s_mul_i32 s3, s9, 0xfffff190
	s_wait_alu 0xfffe
	s_sub_co_i32 s3, s3, s8
	s_delay_alu instid0(VALU_DEP_2) | instskip(SKIP_1) | instid1(VALU_DEP_2)
	v_mad_co_u64_u32 v[7:8], null, s9, v50, v[7:8]
	s_wait_alu 0xfffe
	v_add_nc_u32_e32 v1, s3, v1
	s_delay_alu instid0(VALU_DEP_3) | instskip(SKIP_1) | instid1(VALU_DEP_2)
	v_add_co_u32 v8, s3, v0, s14
	s_wait_alu 0xf1ff
	v_add_co_ci_u32_e64 v9, s3, s15, v1, s3
	s_delay_alu instid0(VALU_DEP_4)
	v_lshlrev_b64_e32 v[6:7], 2, v[6:7]
	s_clause 0x3
	global_load_b32 v10, v[48:49], off offset:1792
	global_load_b32 v11, v[48:49], off offset:3752
	;; [unrolled: 1-line block ×4, first 2 shown]
	global_load_b32 v14, v[0:1], off
	global_load_b32 v15, v[8:9], off
	v_add_co_u32 v0, s3, v2, v6
	s_wait_alu 0xf1ff
	v_add_co_ci_u32_e64 v1, s3, v3, v7, s3
	v_add_co_u32 v2, s3, v8, s14
	s_wait_alu 0xf1ff
	v_add_co_ci_u32_e64 v3, s3, s15, v9, s3
	global_load_b32 v0, v[0:1], off
	global_load_b32 v1, v[2:3], off
	s_wait_loadcnt 0x7
	v_lshrrev_b32_e32 v6, 16, v10
	s_wait_loadcnt 0x6
	v_lshrrev_b32_e32 v2, 16, v11
	;; [unrolled: 2-line block ×6, first 2 shown]
	v_mul_f16_e32 v7, v2, v14
	s_delay_alu instid0(VALU_DEP_3) | instskip(NEXT) | instid1(VALU_DEP_2)
	v_mul_f16_e32 v2, v2, v3
	v_fma_f16 v3, v11, v3, -v7
	v_mul_f16_e32 v7, v8, v15
	v_mul_f16_e32 v8, v8, v20
	s_delay_alu instid0(VALU_DEP_4) | instskip(NEXT) | instid1(VALU_DEP_3)
	v_fmac_f16_e32 v2, v11, v14
	v_fma_f16 v7, v12, v20, -v7
	s_delay_alu instid0(VALU_DEP_3)
	v_fmac_f16_e32 v8, v12, v15
	s_wait_loadcnt 0x1
	v_lshrrev_b32_e32 v21, 16, v0
	s_wait_loadcnt 0x0
	v_lshrrev_b32_e32 v11, 16, v1
	v_mul_f16_e32 v14, v6, v0
	v_mul_f16_e32 v20, v9, v1
	v_pack_b32_f16 v2, v2, v3
	v_mul_f16_e32 v6, v6, v21
	v_mul_f16_e32 v9, v9, v11
	v_fma_f16 v14, v10, v21, -v14
	v_pack_b32_f16 v3, v8, v7
	s_delay_alu instid0(VALU_DEP_4) | instskip(SKIP_2) | instid1(VALU_DEP_3)
	v_fmac_f16_e32 v6, v10, v0
	v_fma_f16 v0, v13, v11, -v20
	v_fmac_f16_e32 v9, v13, v1
	v_pack_b32_f16 v1, v6, v14
	s_delay_alu instid0(VALU_DEP_2)
	v_pack_b32_f16 v0, v9, v0
	ds_store_b32 v96, v1 offset:1792
	ds_store_b32 v96, v2 offset:3752
	;; [unrolled: 1-line block ×4, first 2 shown]
.LBB0_3:
	s_or_b32 exec_lo, exec_lo, s16
	v_add_nc_u32_e32 v0, 0x600, v96
	v_add_nc_u32_e32 v1, 0xe00, v96
	;; [unrolled: 1-line block ×3, first 2 shown]
	global_wb scope:SCOPE_SE
	s_wait_storecnt_dscnt 0x0
	s_wait_kmcnt 0x0
	s_barrier_signal -1
	s_barrier_wait -1
	global_inv scope:SCOPE_SE
	ds_load_2addr_b32 v[12:13], v96 offset1:56
	ds_load_2addr_b32 v[14:15], v0 offset0:106 offset1:162
	ds_load_2addr_b32 v[28:29], v1 offset0:84 offset1:140
	;; [unrolled: 1-line block ×4, first 2 shown]
	v_add_nc_u32_e32 v0, 0xa00, v96
	ds_load_2addr_b32 v[10:11], v4 offset0:90 offset1:146
	ds_load_2addr_b32 v[24:25], v19 offset0:68 offset1:124
	;; [unrolled: 1-line block ×6, first 2 shown]
	v_add_nc_u32_e32 v19, 0x1c00, v96
	ds_load_2addr_b32 v[22:23], v17 offset0:158 offset1:214
	ds_load_2addr_b32 v[0:1], v18 offset0:80 offset1:136
	ds_load_2addr_b32 v[2:3], v16 offset0:58 offset1:114
	ds_load_2addr_b32 v[16:17], v32 offset0:36 offset1:92
	ds_load_2addr_b32 v[18:19], v19 offset0:14 offset1:70
                                        ; implicit-def: $vgpr32
                                        ; implicit-def: $vgpr34
                                        ; implicit-def: $vgpr33
                                        ; implicit-def: $vgpr35
	s_and_saveexec_b32 s3, vcc_lo
	s_cbranch_execz .LBB0_5
; %bb.4:
	ds_load_b32 v32, v96 offset:1792
	ds_load_b32 v33, v96 offset:3752
	;; [unrolled: 1-line block ×4, first 2 shown]
.LBB0_5:
	s_wait_alu 0xfffe
	s_or_b32 exec_lo, exec_lo, s3
	s_wait_dscnt 0x1
	v_pk_add_f16 v77, v0, v16 neg_lo:[0,1] neg_hi:[0,1]
	v_pk_add_f16 v62, v6, v22 neg_lo:[0,1] neg_hi:[0,1]
	s_wait_dscnt 0x0
	v_pk_add_f16 v76, v2, v18 neg_lo:[0,1] neg_hi:[0,1]
	v_pk_add_f16 v78, v3, v19 neg_lo:[0,1] neg_hi:[0,1]
	s_load_b64 s[8:9], s[0:1], 0x8
	v_lshrrev_b32_e32 v18, 16, v77
	v_add_co_u32 v47, s0, v150, 56
	s_wait_alu 0xf1ff
	v_add_co_ci_u32_e64 v36, null, 0, 0, s0
	v_add_co_u32 v55, s0, 0x118, v150
	v_pk_add_f16 v28, v12, v28 neg_lo:[0,1] neg_hi:[0,1]
	v_pk_add_f16 v30, v14, v30 neg_lo:[0,1] neg_hi:[0,1]
	;; [unrolled: 1-line block ×4, first 2 shown]
	v_lshrrev_b32_e32 v20, 16, v62
	v_pk_add_f16 v66, v7, v23 neg_lo:[0,1] neg_hi:[0,1]
	v_pk_add_f16 v79, v1, v17 neg_lo:[0,1] neg_hi:[0,1]
	v_lshrrev_b32_e32 v17, 16, v78
	v_add_f16_e32 v83, v18, v76
	s_wait_alu 0xf1ff
	v_add_co_ci_u32_e64 v36, null, 0, 0, s0
	v_add_co_u32 v56, s0, 0x150, v150
	s_wait_alu 0xf1ff
	v_add_co_ci_u32_e64 v36, null, 0, 0, s0
	v_lshrrev_b32_e32 v36, 16, v30
	v_lshrrev_b32_e32 v37, 16, v28
	v_pk_add_f16 v31, v15, v31 neg_lo:[0,1] neg_hi:[0,1]
	v_pk_add_f16 v29, v13, v29 neg_lo:[0,1] neg_hi:[0,1]
	;; [unrolled: 1-line block ×3, first 2 shown]
	v_lshrrev_b32_e32 v24, 16, v26
	v_pk_add_f16 v27, v11, v27 neg_lo:[0,1] neg_hi:[0,1]
	v_pk_add_f16 v67, v5, v21 neg_lo:[0,1] neg_hi:[0,1]
	v_sub_f16_e32 v69, v63, v20
	v_lshrrev_b32_e32 v20, 16, v66
	v_sub_f16_e32 v84, v79, v17
	v_pk_add_f16 v17, v33, v35 neg_lo:[0,1] neg_hi:[0,1]
	v_fma_f16 v35, v18, 2.0, -v83
	v_pk_fma_f16 v18, v12, 2.0, v28 op_sel_hi:[1,0,1] neg_lo:[0,0,1] neg_hi:[0,0,1]
	v_pk_fma_f16 v14, v14, 2.0, v30 op_sel_hi:[1,0,1] neg_lo:[0,0,1] neg_hi:[0,0,1]
	v_add_co_u32 v57, s0, 0x188, v150
	s_wait_alu 0xf1ff
	v_add_co_ci_u32_e64 v39, null, 0, 0, s0
	v_sub_f16_e32 v36, v28, v36
	v_lshrrev_b32_e32 v39, 16, v31
	v_add_f16_e32 v40, v37, v30
	v_lshrrev_b32_e32 v44, 16, v29
	v_lshrrev_b32_e32 v53, 16, v45
	v_sub_f16_e32 v54, v45, v24
	v_pk_add_f16 v58, v9, v25 neg_lo:[0,1] neg_hi:[0,1]
	v_lshrrev_b32_e32 v24, 16, v27
	v_lshrrev_b32_e32 v22, 16, v63
	;; [unrolled: 1-line block ×3, first 2 shown]
	v_sub_f16_e32 v74, v67, v20
	v_lshrrev_b32_e32 v19, 16, v79
	v_pk_add_f16 v20, v18, v14 neg_lo:[0,1] neg_hi:[0,1]
	v_pk_fma_f16 v13, v13, 2.0, v29 op_sel_hi:[1,0,1] neg_lo:[0,0,1] neg_hi:[0,0,1]
	v_pk_fma_f16 v14, v15, 2.0, v31 op_sel_hi:[1,0,1] neg_lo:[0,0,1] neg_hi:[0,0,1]
	v_fma_f16 v43, v28, 2.0, -v36
	v_sub_f16_e32 v39, v29, v39
	v_fma_f16 v37, v37, 2.0, -v40
	v_add_f16_e32 v46, v44, v31
	v_add_f16_e32 v60, v53, v26
	v_lshrrev_b32_e32 v25, 16, v58
	v_sub_f16_e32 v64, v58, v24
	v_add_f16_e32 v70, v22, v62
	v_add_f16_e32 v75, v21, v66
	;; [unrolled: 1-line block ×3, first 2 shown]
	v_pk_add_f16 v24, v13, v14 neg_lo:[0,1] neg_hi:[0,1]
	v_pk_fma_f16 v8, v8, 2.0, v45 op_sel_hi:[1,0,1] neg_lo:[0,0,1] neg_hi:[0,0,1]
	v_pk_fma_f16 v10, v10, 2.0, v26 op_sel_hi:[1,0,1] neg_lo:[0,0,1] neg_hi:[0,0,1]
	v_add_co_u32 v41, null, 0x70, v150
	v_fma_f16 v51, v29, 2.0, -v39
	v_fma_f16 v59, v44, 2.0, -v46
	;; [unrolled: 1-line block ×4, first 2 shown]
	v_add_f16_e32 v65, v25, v27
	v_fma_f16 v73, v22, 2.0, -v70
	v_fma_f16 v81, v21, 2.0, -v75
	v_fma_f16 v87, v19, 2.0, -v85
	v_lshlrev_b32_e32 v221, 4, v150
	v_pk_fma_f16 v18, v18, 2.0, v20 op_sel_hi:[1,0,1] neg_lo:[0,0,1] neg_hi:[0,0,1]
	v_pack_b32_f16 v21, v36, v40
	v_pack_b32_f16 v19, v43, v37
	v_pk_fma_f16 v22, v13, 2.0, v24 op_sel_hi:[1,0,1] neg_lo:[0,0,1] neg_hi:[0,0,1]
	v_pk_add_f16 v10, v8, v10 neg_lo:[0,1] neg_hi:[0,1]
	v_pk_fma_f16 v13, v9, 2.0, v58 op_sel_hi:[1,0,1] neg_lo:[0,0,1] neg_hi:[0,0,1]
	v_pk_fma_f16 v9, v11, 2.0, v27 op_sel_hi:[1,0,1] neg_lo:[0,0,1] neg_hi:[0,0,1]
	v_lshrrev_b32_e32 v16, 16, v76
	v_fma_f16 v71, v25, 2.0, -v65
	global_wb scope:SCOPE_SE
	s_wait_kmcnt 0x0
	s_barrier_signal -1
	s_barrier_wait -1
	global_inv scope:SCOPE_SE
	v_lshlrev_b32_e32 v219, 4, v47
	v_pack_b32_f16 v25, v39, v46
	v_pack_b32_f16 v23, v51, v59
	ds_store_b128 v221, v[18:21]
	v_lshlrev_b32_e32 v220, 4, v41
	v_pk_fma_f16 v8, v8, 2.0, v10 op_sel_hi:[1,0,1] neg_lo:[0,0,1] neg_hi:[0,0,1]
	v_pack_b32_f16 v11, v54, v60
	v_pk_add_f16 v20, v13, v9 neg_lo:[0,1] neg_hi:[0,1]
	v_pack_b32_f16 v9, v61, v53
	v_add_co_u32 v42, null, 0xa8, v150
	v_fma_f16 v68, v58, 2.0, -v64
	v_sub_f16_e32 v82, v77, v16
	v_pk_add_f16 v16, v32, v34 neg_lo:[0,1] neg_hi:[0,1]
	v_pk_fma_f16 v4, v4, 2.0, v63 op_sel_hi:[1,0,1] neg_lo:[0,0,1] neg_hi:[0,0,1]
	v_pk_fma_f16 v6, v6, 2.0, v62 op_sel_hi:[1,0,1] neg_lo:[0,0,1] neg_hi:[0,0,1]
	ds_store_b128 v219, v[22:25]
	ds_store_b128 v220, v[8:11]
	v_pk_fma_f16 v8, v5, 2.0, v67 op_sel_hi:[1,0,1] neg_lo:[0,0,1] neg_hi:[0,0,1]
	v_pk_fma_f16 v5, v7, 2.0, v66 op_sel_hi:[1,0,1] neg_lo:[0,0,1] neg_hi:[0,0,1]
	;; [unrolled: 1-line block ×4, first 2 shown]
	v_lshlrev_b32_e32 v97, 4, v42
	v_pk_fma_f16 v18, v13, 2.0, v20 op_sel_hi:[1,0,1] neg_lo:[0,0,1] neg_hi:[0,0,1]
	v_pack_b32_f16 v21, v64, v65
	v_pack_b32_f16 v19, v68, v71
	v_pk_fma_f16 v13, v1, 2.0, v79 op_sel_hi:[1,0,1] neg_lo:[0,0,1] neg_hi:[0,0,1]
	v_pk_fma_f16 v1, v3, 2.0, v78 op_sel_hi:[1,0,1] neg_lo:[0,0,1] neg_hi:[0,0,1]
	v_add_co_u32 v38, null, 0xe0, v150
	v_fma_f16 v72, v63, 2.0, -v69
	v_pk_add_f16 v12, v16, v17 op_sel:[0,1] op_sel_hi:[1,0]
	v_pk_add_f16 v6, v4, v6 neg_lo:[0,1] neg_hi:[0,1]
	v_fma_f16 v80, v67, 2.0, -v74
	v_pk_add_f16 v10, v8, v5 neg_lo:[0,1] neg_hi:[0,1]
	v_fma_f16 v34, v77, 2.0, -v82
	;; [unrolled: 2-line block ×3, first 2 shown]
	ds_store_b128 v97, v[18:21]
	v_pk_add_f16 v20, v13, v1 neg_lo:[0,1] neg_hi:[0,1]
	v_pk_add_f16 v44, v16, v17 op_sel:[0,1] op_sel_hi:[1,0] neg_lo:[0,1] neg_hi:[0,1]
	v_lshlrev_b32_e32 v212, 4, v38
	v_pk_fma_f16 v4, v4, 2.0, v6 op_sel_hi:[1,0,1] neg_lo:[0,0,1] neg_hi:[0,0,1]
	v_pack_b32_f16 v7, v69, v70
	v_pack_b32_f16 v5, v72, v73
	v_lshlrev_b32_e32 v215, 4, v55
	v_lshlrev_b32_e32 v216, 4, v56
	;; [unrolled: 1-line block ×3, first 2 shown]
	v_lshrrev_b32_e32 v46, 16, v12
	v_pk_fma_f16 v8, v8, 2.0, v10 op_sel_hi:[1,0,1] neg_lo:[0,0,1] neg_hi:[0,0,1]
	v_pack_b32_f16 v11, v74, v75
	v_pack_b32_f16 v9, v80, v81
	v_pk_fma_f16 v0, v0, 2.0, v2 op_sel_hi:[1,0,1] neg_lo:[0,0,1] neg_hi:[0,0,1]
	v_pack_b32_f16 v3, v82, v83
	v_pack_b32_f16 v1, v34, v35
	;; [unrolled: 3-line block ×3, first 2 shown]
	ds_store_b128 v212, v[4:7]
	ds_store_b128 v215, v[8:11]
	;; [unrolled: 1-line block ×4, first 2 shown]
	s_and_saveexec_b32 s0, s2
	s_wait_alu 0xfffe
	s_xor_b32 s0, exec_lo, s0
; %bb.6:
                                        ; implicit-def: $vgpr32
                                        ; implicit-def: $vgpr16
                                        ; implicit-def: $vgpr33
                                        ; implicit-def: $vgpr17
                                        ; implicit-def: $vgpr12
; %bb.7:
	s_wait_alu 0xfffe
	s_or_saveexec_b32 s0, s0
	v_lshlrev_b32_e32 v218, 4, v50
	s_wait_alu 0xfffe
	s_xor_b32 exec_lo, exec_lo, s0
	s_cbranch_execz .LBB0_9
; %bb.8:
	v_pk_fma_f16 v0, v32, 2.0, v16 op_sel_hi:[1,0,1] neg_lo:[0,0,1] neg_hi:[0,0,1]
	v_pk_fma_f16 v1, v33, 2.0, v17 op_sel_hi:[1,0,1] neg_lo:[0,0,1] neg_hi:[0,0,1]
	v_bfi_b32 v3, 0xffff, v44, v12
	s_delay_alu instid0(VALU_DEP_2) | instskip(NEXT) | instid1(VALU_DEP_2)
	v_pk_add_f16 v2, v0, v1 neg_lo:[0,1] neg_hi:[0,1]
	v_pk_fma_f16 v1, v16, 2.0, v3 op_sel_hi:[1,0,1] neg_lo:[0,0,1] neg_hi:[0,0,1]
	s_delay_alu instid0(VALU_DEP_2)
	v_pk_fma_f16 v0, v0, 2.0, v2 op_sel_hi:[1,0,1] neg_lo:[0,0,1] neg_hi:[0,0,1]
	ds_store_b128 v218, v[0:3]
.LBB0_9:
	s_or_b32 exec_lo, exec_lo, s0
	v_and_b32_e32 v12, 3, v150
	global_wb scope:SCOPE_SE
	s_wait_dscnt 0x0
	s_barrier_signal -1
	s_barrier_wait -1
	global_inv scope:SCOPE_SE
	v_mul_u32_u24_e32 v0, 6, v12
	v_add_nc_u32_e32 v15, 0x200, v96
	v_add_nc_u32_e32 v10, 0x800, v96
	;; [unrolled: 1-line block ×4, first 2 shown]
	v_lshlrev_b32_e32 v4, 2, v0
	v_add_nc_u32_e32 v13, 0x1400, v96
	v_add_nc_u32_e32 v11, 0x1800, v96
	;; [unrolled: 1-line block ×4, first 2 shown]
	s_clause 0x1
	global_load_b128 v[0:3], v4, s[8:9]
	global_load_b64 v[53:54], v4, s[8:9] offset:16
	ds_load_2addr_b32 v[8:9], v96 offset1:56
	ds_load_2addr_b32 v[6:7], v96 offset0:112 offset1:168
	v_add_nc_u32_e32 v40, 0x1c00, v96
	v_add_nc_u32_e32 v18, 0xe00, v96
	ds_load_b32 v43, v96 offset:7616
	ds_load_2addr_b32 v[4:5], v15 offset0:96 offset1:152
	ds_load_2addr_b32 v[30:31], v10 offset0:48 offset1:104
	;; [unrolled: 1-line block ×11, first 2 shown]
	ds_load_2addr_b32 v[70:71], v40 offset1:56
	ds_load_2addr_b32 v[72:73], v14 offset0:192 offset1:248
	ds_load_2addr_b32 v[74:75], v18 offset0:112 offset1:168
	;; [unrolled: 1-line block ×3, first 2 shown]
	global_wb scope:SCOPE_SE
	s_wait_loadcnt_dscnt 0x0
	s_barrier_signal -1
	s_barrier_wait -1
	global_inv scope:SCOPE_SE
	v_lshrrev_b32_e32 v78, 16, v43
	v_lshrrev_b32_e32 v79, 16, v5
	;; [unrolled: 1-line block ×35, first 2 shown]
	v_cmp_gt_u16_e64 s0, 28, v150
	v_lshrrev_b32_e32 v167, 16, v0
	v_lshrrev_b32_e32 v169, 16, v1
	;; [unrolled: 1-line block ×6, first 2 shown]
	v_mul_f16_e64 v123, v79, v167
	v_mul_f16_e64 v126, v5, v167
	;; [unrolled: 1-line block ×25, first 2 shown]
	v_fma_f16 v5, v5, v0, -v123
	v_fmac_f16_e32 v126, v79, v0
	v_fma_f16 v30, v30, v1, -v127
	v_fmac_f16_e64 v129, v80, v1
	v_fma_f16 v33, v33, v2, -v131
	v_fmac_f16_e64 v134, v81, v2
	;; [unrolled: 2-line block ×9, first 2 shown]
	v_mul_f16_e64 v185, v70, v164
	v_mul_f16_e64 v27, v72, v167
	;; [unrolled: 1-line block ×11, first 2 shown]
	v_fma_f16 v62, v62, v2, -v157
	v_fmac_f16_e64 v159, v87, v2
	v_fma_f16 v35, v35, v3, -v160
	v_fmac_f16_e64 v161, v88, v3
	v_fmac_f16_e32 v26, v78, v54
	v_add_f16_e32 v78, v5, v58
	v_add_f16_e64 v79, v126, v145
	v_sub_f16_e32 v5, v5, v58
	v_sub_f16_e64 v58, v126, v145
	v_add_f16_e32 v80, v30, v37
	v_add_f16_e64 v81, v129, v142
	v_sub_f16_e32 v30, v30, v37
	v_sub_f16_e64 v37, v129, v142
	;; [unrolled: 4-line block ×3, first 2 shown]
	v_add_f16_e32 v84, v60, v59
	v_add_f16_e64 v85, v151, v171
	v_add_f16_e32 v86, v31, v64
	v_add_f16_e64 v87, v155, v163
	v_mul_f16_e64 v184, v99, v164
	v_mul_f16_e64 v186, v101, v167
	;; [unrolled: 1-line block ×12, first 2 shown]
	v_fmac_f16_e64 v185, v99, v54
	v_fmac_f16_e32 v27, v101, v0
	v_fmac_f16_e32 v28, v103, v1
	;; [unrolled: 1-line block ×3, first 2 shown]
	v_fmac_f16_e64 v190, v107, v3
	v_fmac_f16_e64 v192, v109, v53
	;; [unrolled: 1-line block ×3, first 2 shown]
	v_fmac_f16_e32 v21, v113, v0
	v_fmac_f16_e32 v22, v115, v1
	v_fmac_f16_e32 v23, v118, v2
	v_sub_f16_e32 v59, v60, v59
	v_sub_f16_e64 v60, v151, v171
	v_sub_f16_e32 v31, v31, v64
	v_sub_f16_e64 v64, v155, v163
	v_add_f16_e32 v88, v62, v35
	v_add_f16_e64 v89, v159, v161
	v_sub_f16_e32 v35, v35, v62
	v_sub_f16_e64 v62, v161, v159
	v_add_f16_e32 v99, v80, v78
	v_add_f16_e32 v101, v81, v79
	v_sub_f16_e32 v103, v80, v78
	v_sub_f16_e32 v105, v81, v79
	v_sub_f16_e32 v78, v78, v82
	v_sub_f16_e32 v79, v79, v83
	v_sub_f16_e32 v80, v82, v80
	v_sub_f16_e32 v81, v83, v81
	v_add_f16_e32 v107, v33, v30
	v_add_f16_e32 v109, v34, v37
	v_sub_f16_e32 v111, v33, v30
	v_sub_f16_e32 v113, v34, v37
	;; [unrolled: 1-line block ×4, first 2 shown]
	v_add_f16_e32 v115, v86, v84
	v_add_f16_e32 v118, v87, v85
	v_mul_f16_e64 v173, v91, v167
	v_mul_f16_e64 v174, v61, v167
	;; [unrolled: 1-line block ×8, first 2 shown]
	v_fmac_f16_e32 v24, v119, v3
	v_fmac_f16_e32 v25, v121, v53
	v_sub_f16_e32 v33, v5, v33
	v_sub_f16_e32 v34, v58, v34
	;; [unrolled: 1-line block ×8, first 2 shown]
	v_add_f16_e32 v123, v35, v31
	v_add_f16_e32 v126, v62, v64
	v_sub_f16_e32 v127, v35, v31
	v_sub_f16_e64 v129, v62, v64
	v_sub_f16_e32 v31, v31, v59
	v_sub_f16_e32 v64, v64, v60
	v_add_f16_e32 v82, v82, v99
	v_add_f16_e32 v83, v83, v101
	;; [unrolled: 1-line block ×4, first 2 shown]
	v_mul_f16_e32 v78, 0x3a52, v78
	v_mul_f16_e32 v79, 0x3a52, v79
	;; [unrolled: 1-line block ×8, first 2 shown]
	v_add_f16_e32 v88, v88, v115
	v_add_f16_e32 v89, v89, v118
	v_mul_f16_e64 v177, v93, v168
	v_mul_f16_e64 v179, v63, v168
	;; [unrolled: 1-line block ×4, first 2 shown]
	v_fma_f16 v61, v61, v0, -v173
	v_fmac_f16_e64 v174, v91, v0
	v_fma_f16 v66, v66, v1, -v175
	v_fmac_f16_e64 v176, v92, v1
	;; [unrolled: 2-line block ×3, first 2 shown]
	v_fma_f16 v70, v70, v54, -v184
	v_sub_f16_e32 v35, v59, v35
	v_sub_f16_e32 v62, v60, v62
	v_add_f16_e32 v59, v123, v59
	v_add_f16_e32 v60, v126, v60
	v_mul_f16_e32 v84, 0x3a52, v84
	v_mul_f16_e32 v85, 0x3a52, v85
	;; [unrolled: 1-line block ×5, first 2 shown]
	v_mul_f16_e64 v126, 0xb846, v129
	v_mul_f16_e32 v127, 0x3b00, v31
	v_mul_f16_e64 v129, 0x3b00, v64
	v_add_f16_e32 v8, v8, v82
	v_add_f16_e32 v45, v45, v83
	v_fmamk_f16 v80, v80, 0x2b26, v78
	v_fmamk_f16 v81, v81, 0x2b26, v79
	v_fma_f16 v99, v103, 0x39e0, -v99
	v_fma_f16 v101, v105, 0x39e0, -v101
	;; [unrolled: 1-line block ×4, first 2 shown]
	v_fmamk_f16 v103, v33, 0x3574, v107
	v_fmamk_f16 v105, v34, 0x3574, v109
	v_fma_f16 v30, v30, 0x3b00, -v107
	v_fma_f16 v37, v37, 0x3b00, -v109
	;; [unrolled: 1-line block ×4, first 2 shown]
	v_add_f16_e32 v9, v9, v88
	v_add_f16_e32 v51, v51, v89
	v_fma_f16 v63, v63, v2, -v177
	v_fmac_f16_e64 v179, v93, v2
	v_fma_f16 v68, v68, v3, -v180
	v_fmac_f16_e64 v181, v94, v3
	v_add_f16_e32 v90, v61, v70
	v_add_f16_e64 v91, v174, v185
	v_add_f16_e32 v92, v66, v65
	v_add_f16_e64 v93, v176, v183
	v_fmamk_f16 v86, v86, 0x2b26, v84
	v_fmamk_f16 v87, v87, 0x2b26, v85
	v_fma_f16 v107, v119, 0x39e0, -v115
	v_fma_f16 v109, v121, 0x39e0, -v118
	;; [unrolled: 1-line block ×4, first 2 shown]
	v_fmamk_f16 v111, v35, 0x3574, v123
	v_fmamk_f16 v113, v62, 0x3574, v126
	v_fma_f16 v31, v31, 0x3b00, -v123
	v_fma_f16 v64, v64, 0x3b00, -v126
	;; [unrolled: 1-line block ×4, first 2 shown]
	v_fmamk_f16 v82, v82, 0xbcab, v8
	v_fmamk_f16 v83, v83, 0xbcab, v45
	v_fmac_f16_e32 v103, 0x370e, v5
	v_fmac_f16_e32 v105, 0x370e, v58
	v_fmac_f16_e32 v30, 0x370e, v5
	v_fmac_f16_e32 v37, 0x370e, v58
	v_fmac_f16_e32 v33, 0x370e, v5
	v_fmac_f16_e32 v34, 0x370e, v58
	v_fmamk_f16 v5, v88, 0xbcab, v9
	v_fmamk_f16 v58, v89, 0xbcab, v51
	v_sub_f16_e32 v61, v61, v70
	v_sub_f16_e64 v70, v174, v185
	v_sub_f16_e32 v65, v66, v65
	v_sub_f16_e64 v66, v176, v183
	v_add_f16_e32 v94, v63, v68
	v_add_f16_e64 v95, v179, v181
	v_sub_f16_e32 v63, v68, v63
	v_sub_f16_e64 v68, v181, v179
	v_add_f16_e64 v131, v92, v90
	v_add_f16_e64 v134, v93, v91
	v_fmac_f16_e32 v111, 0x370e, v59
	v_fmac_f16_e32 v113, 0x370e, v60
	;; [unrolled: 1-line block ×6, first 2 shown]
	v_add_f16_e32 v59, v80, v82
	v_add_f16_e32 v60, v81, v83
	;; [unrolled: 1-line block ×12, first 2 shown]
	v_sub_f16_e64 v135, v92, v90
	v_sub_f16_e64 v137, v93, v91
	v_sub_f16_e32 v90, v90, v94
	v_sub_f16_e32 v91, v91, v95
	v_sub_f16_e32 v92, v94, v92
	v_sub_f16_e32 v93, v95, v93
	v_add_f16_e64 v140, v63, v65
	v_add_f16_e64 v142, v68, v66
	v_sub_f16_e64 v143, v63, v65
	v_add_f16_e32 v84, v105, v59
	v_sub_f16_e32 v85, v60, v103
	v_add_f16_e32 v88, v34, v78
	v_sub_f16_e32 v89, v79, v33
	v_sub_f16_e32 v99, v80, v37
	v_add_f16_e32 v101, v30, v81
	v_add_f16_e32 v37, v37, v80
	v_sub_f16_e32 v30, v81, v30
	v_sub_f16_e32 v34, v78, v34
	v_add_f16_e32 v33, v33, v79
	v_sub_f16_e32 v78, v59, v105
	v_add_f16_e32 v60, v103, v60
	v_add_f16_e32 v79, v113, v82
	v_sub_f16_e32 v80, v83, v111
	v_add_f16_e32 v81, v62, v5
	v_sub_f16_e32 v103, v58, v35
	v_sub_f16_e32 v5, v5, v62
	v_add_f16_e32 v35, v35, v58
	v_sub_f16_e32 v62, v82, v113
	v_add_f16_e32 v82, v111, v83
	v_sub_f16_e32 v58, v68, v66
	v_sub_f16_e32 v59, v61, v63
	;; [unrolled: 1-line block ×4, first 2 shown]
	v_add_f16_e64 v68, v94, v131
	v_add_f16_e64 v83, v95, v134
	v_sub_f16_e32 v66, v66, v70
	v_sub_f16_e32 v105, v86, v64
	v_add_f16_e32 v107, v31, v87
	v_add_f16_e32 v64, v64, v86
	v_sub_f16_e32 v31, v87, v31
	v_add_f16_e32 v6, v6, v68
	v_add_f16_e32 v20, v20, v83
	v_mul_f16_e32 v86, 0x3a52, v90
	v_mul_f16_e32 v87, 0x3a52, v91
	;; [unrolled: 1-line block ×4, first 2 shown]
	v_mul_f16_e64 v94, 0xb846, v143
	v_mul_f16_e32 v58, 0xb846, v58
	v_mul_f16_e32 v95, 0x3b00, v65
	;; [unrolled: 1-line block ×3, first 2 shown]
	v_add_f16_e64 v61, v140, v61
	v_add_f16_e64 v70, v142, v70
	v_fmamk_f16 v68, v68, 0xbcab, v6
	v_fmamk_f16 v83, v83, 0xbcab, v20
	;; [unrolled: 1-line block ×4, first 2 shown]
	v_fma_f16 v90, v135, 0x39e0, -v90
	v_fma_f16 v91, v137, 0x39e0, -v91
	;; [unrolled: 1-line block ×4, first 2 shown]
	v_fmamk_f16 v111, v59, 0x3574, v94
	v_fmamk_f16 v113, v63, 0x3574, v58
	v_fma_f16 v65, v65, 0x3b00, -v94
	v_fma_f16 v58, v66, 0x3b00, -v58
	;; [unrolled: 1-line block ×8, first 2 shown]
	v_add_f16_e32 v66, v92, v68
	v_add_f16_e32 v92, v93, v83
	;; [unrolled: 1-line block ×6, first 2 shown]
	v_fmac_f16_e32 v65, 0x370e, v61
	v_fmac_f16_e32 v63, 0x370e, v70
	;; [unrolled: 1-line block ×4, first 2 shown]
	v_fma_f16 v74, v74, v2, -v188
	v_fma_f16 v69, v69, v3, -v189
	v_fmac_f16_e32 v111, 0x370e, v61
	v_add_f16_e32 v86, v63, v68
	v_sub_f16_e32 v87, v83, v59
	v_sub_f16_e32 v93, v90, v58
	v_add_f16_e32 v94, v65, v91
	v_add_f16_e32 v90, v58, v90
	v_sub_f16_e32 v65, v91, v65
	v_sub_f16_e32 v63, v68, v63
	v_add_f16_e32 v68, v59, v83
	v_add_f16_e32 v58, v72, v71
	v_add_f16_e64 v59, v27, v194
	v_sub_f16_e32 v71, v72, v71
	v_add_f16_e32 v72, v67, v76
	v_add_f16_e64 v91, v28, v192
	v_fmac_f16_e32 v113, 0x370e, v70
	v_sub_f16_e32 v70, v92, v111
	v_add_f16_e32 v83, v111, v92
	v_sub_f16_e64 v27, v27, v194
	v_sub_f16_e32 v67, v67, v76
	v_sub_f16_e64 v28, v28, v192
	v_add_f16_e32 v76, v74, v69
	v_add_f16_e64 v92, v29, v190
	v_sub_f16_e32 v69, v69, v74
	v_sub_f16_e64 v29, v190, v29
	v_add_f16_e32 v74, v72, v58
	v_add_f16_e32 v95, v91, v59
	;; [unrolled: 1-line block ×3, first 2 shown]
	v_sub_f16_e32 v66, v66, v113
	v_sub_f16_e32 v109, v72, v58
	;; [unrolled: 1-line block ×7, first 2 shown]
	v_add_f16_e32 v113, v69, v67
	v_add_f16_e32 v115, v29, v28
	v_sub_f16_e32 v118, v69, v67
	v_sub_f16_e32 v119, v29, v28
	v_sub_f16_e32 v67, v67, v71
	v_add_f16_e32 v74, v76, v74
	v_add_f16_e32 v76, v92, v95
	v_sub_f16_e32 v28, v28, v27
	v_sub_f16_e32 v69, v71, v69
	;; [unrolled: 1-line block ×3, first 2 shown]
	v_add_f16_e32 v71, v113, v71
	v_add_f16_e32 v27, v115, v27
	;; [unrolled: 1-line block ×4, first 2 shown]
	v_mul_f16_e32 v58, 0x3a52, v58
	v_mul_f16_e32 v59, 0x3a52, v59
	;; [unrolled: 1-line block ×8, first 2 shown]
	v_fmamk_f16 v74, v74, 0xbcab, v7
	v_fmamk_f16 v76, v76, 0xbcab, v19
	;; [unrolled: 1-line block ×4, first 2 shown]
	v_fma_f16 v92, v109, 0x39e0, -v92
	v_fma_f16 v95, v111, 0x39e0, -v95
	;; [unrolled: 1-line block ×4, first 2 shown]
	v_fmamk_f16 v109, v69, 0x3574, v113
	v_fmamk_f16 v111, v29, 0x3574, v115
	v_fma_f16 v69, v69, 0xb574, -v118
	v_fma_f16 v29, v29, 0xb574, -v119
	;; [unrolled: 1-line block ×6, first 2 shown]
	v_add_f16_e32 v58, v58, v74
	v_add_f16_e32 v59, v59, v76
	v_fmac_f16_e32 v29, 0x370e, v27
	v_fmac_f16_e32 v69, 0x370e, v71
	v_fma_f16 v75, v75, v2, -v197
	v_fma_f16 v36, v36, v3, -v198
	;; [unrolled: 1-line block ×3, first 2 shown]
	v_add_f16_e32 v72, v72, v74
	v_add_f16_e32 v91, v91, v76
	;; [unrolled: 1-line block ×5, first 2 shown]
	v_sub_f16_e32 v76, v59, v69
	v_sub_f16_e32 v29, v58, v29
	v_add_f16_e32 v69, v69, v59
	v_add_f16_e32 v58, v73, v43
	;; [unrolled: 1-line block ×3, first 2 shown]
	v_sub_f16_e32 v21, v21, v26
	v_add_f16_e32 v26, v32, v77
	v_fma_f16 v67, v67, 0x3b00, -v113
	v_fmac_f16_e32 v28, 0x370e, v27
	v_sub_f16_e32 v43, v73, v43
	v_add_f16_e32 v73, v22, v25
	v_sub_f16_e32 v32, v32, v77
	v_sub_f16_e32 v22, v22, v25
	v_add_f16_e32 v25, v75, v36
	v_add_f16_e32 v77, v23, v24
	v_sub_f16_e32 v23, v24, v23
	v_add_f16_e32 v24, v26, v58
	v_fmac_f16_e32 v109, 0x370e, v71
	v_fmac_f16_e32 v111, 0x370e, v27
	;; [unrolled: 1-line block ×3, first 2 shown]
	v_sub_f16_e32 v113, v92, v28
	v_add_f16_e32 v28, v28, v92
	v_sub_f16_e32 v36, v36, v75
	v_add_f16_e32 v75, v73, v59
	v_sub_f16_e32 v92, v26, v58
	v_sub_f16_e32 v58, v58, v25
	;; [unrolled: 1-line block ×3, first 2 shown]
	v_add_f16_e32 v24, v25, v24
	v_add_f16_e32 v27, v111, v72
	v_sub_f16_e32 v71, v91, v109
	v_add_f16_e32 v115, v67, v95
	v_sub_f16_e32 v67, v95, v67
	v_sub_f16_e32 v72, v72, v111
	v_add_f16_e32 v91, v109, v91
	v_sub_f16_e32 v95, v73, v59
	v_sub_f16_e32 v59, v59, v77
	;; [unrolled: 1-line block ×3, first 2 shown]
	v_add_f16_e32 v109, v36, v32
	v_add_f16_e32 v111, v23, v22
	v_sub_f16_e32 v118, v36, v32
	v_sub_f16_e32 v119, v23, v22
	;; [unrolled: 1-line block ×3, first 2 shown]
	v_add_f16_e32 v25, v77, v75
	v_sub_f16_e32 v22, v22, v21
	v_add_f16_e32 v4, v4, v24
	v_mul_f16_e32 v58, 0x3a52, v58
	v_mul_f16_e32 v75, 0x2b26, v26
	v_sub_f16_e32 v36, v43, v36
	v_sub_f16_e32 v23, v21, v23
	v_add_f16_e32 v43, v109, v43
	v_add_f16_e32 v21, v111, v21
	;; [unrolled: 1-line block ×3, first 2 shown]
	v_mul_f16_e32 v59, 0x3a52, v59
	v_mul_f16_e32 v77, 0x2b26, v73
	v_mul_f16_e32 v109, 0xb846, v118
	v_mul_f16_e32 v111, 0xb846, v119
	v_mul_f16_e32 v118, 0x3b00, v32
	v_mul_f16_e32 v119, 0x3b00, v22
	v_fmamk_f16 v24, v24, 0xbcab, v4
	v_fmamk_f16 v26, v26, 0x2b26, v58
	v_fma_f16 v75, v92, 0x39e0, -v75
	v_fma_f16 v58, v92, 0xb9e0, -v58
	v_fmamk_f16 v25, v25, 0xbcab, v18
	v_fmamk_f16 v73, v73, 0x2b26, v59
	v_fma_f16 v77, v95, 0x39e0, -v77
	v_fma_f16 v59, v95, 0xb9e0, -v59
	v_fmamk_f16 v92, v36, 0x3574, v109
	v_fmamk_f16 v95, v23, 0x3574, v111
	v_fma_f16 v36, v36, 0xb574, -v118
	v_fma_f16 v23, v23, 0xb574, -v119
	v_add_f16_e32 v26, v26, v24
	v_add_f16_e32 v75, v75, v24
	;; [unrolled: 1-line block ×3, first 2 shown]
	v_lshrrev_b32_e32 v58, 2, v150
	v_add_f16_e32 v73, v73, v25
	v_add_f16_e32 v77, v77, v25
	;; [unrolled: 1-line block ×3, first 2 shown]
	v_fmac_f16_e32 v23, 0x370e, v21
	v_fmac_f16_e32 v36, 0x370e, v43
	v_mul_u32_u24_e32 v59, 28, v58
	v_fma_f16 v32, v32, 0x3b00, -v109
	v_fma_f16 v22, v22, 0x3b00, -v111
	v_add_f16_e32 v109, v23, v24
	v_sub_f16_e32 v111, v25, v36
	v_sub_f16_e32 v23, v24, v23
	v_add_f16_e32 v24, v36, v25
	v_or_b32_e32 v25, v59, v12
	v_fmac_f16_e32 v95, 0x370e, v21
	v_fmac_f16_e32 v22, 0x370e, v21
	v_pack_b32_f16 v8, v8, v45
	v_pack_b32_f16 v36, v88, v89
	v_lshlrev_b32_e32 v174, 2, v25
	v_lshrrev_b32_e32 v25, 2, v47
	v_add_f16_e32 v21, v95, v26
	v_sub_f16_e32 v58, v26, v95
	v_pack_b32_f16 v26, v84, v85
	v_pack_b32_f16 v45, v99, v101
	v_mul_u32_u24_e32 v25, 28, v25
	v_pack_b32_f16 v30, v37, v30
	v_pack_b32_f16 v33, v34, v33
	ds_store_2addr_b32 v174, v8, v26 offset1:4
	v_lshrrev_b32_e32 v26, 2, v41
	v_or_b32_e32 v8, v25, v12
	v_pack_b32_f16 v25, v78, v60
	ds_store_2addr_b32 v174, v36, v45 offset0:8 offset1:12
	ds_store_2addr_b32 v174, v30, v33 offset0:16 offset1:20
	v_pack_b32_f16 v30, v81, v103
	v_mul_u32_u24_e32 v26, 28, v26
	v_lshlrev_b32_e32 v170, 2, v8
	v_pack_b32_f16 v8, v9, v51
	v_pack_b32_f16 v9, v79, v80
	;; [unrolled: 1-line block ×5, first 2 shown]
	ds_store_b32 v174, v25 offset:96
	ds_store_2addr_b32 v170, v8, v9 offset1:4
	ds_store_2addr_b32 v170, v30, v33 offset0:8 offset1:12
	ds_store_2addr_b32 v170, v31, v5 offset0:16 offset1:20
	v_lshrrev_b32_e32 v8, 2, v42
	v_or_b32_e32 v25, v26, v12
	v_pack_b32_f16 v5, v62, v82
	v_pack_b32_f16 v6, v6, v20
	;; [unrolled: 1-line block ×3, first 2 shown]
	v_mul_u32_u24_e32 v8, 28, v8
	v_lshlrev_b32_e32 v51, 2, v25
	ds_store_b32 v170, v5 offset:96
	ds_store_2addr_b32 v51, v6, v9 offset1:4
	v_or_b32_e32 v5, v8, v12
	v_lshrrev_b32_e32 v8, 2, v38
	v_fmac_f16_e32 v92, 0x370e, v43
	v_pack_b32_f16 v20, v86, v87
	v_pack_b32_f16 v25, v93, v94
	;; [unrolled: 1-line block ×3, first 2 shown]
	v_mul_u32_u24_e32 v8, 28, v8
	v_fmac_f16_e32 v32, 0x370e, v43
	v_pack_b32_f16 v26, v90, v65
	v_pack_b32_f16 v30, v63, v68
	v_lshlrev_b32_e32 v162, 2, v5
	v_pack_b32_f16 v5, v7, v19
	v_pack_b32_f16 v7, v27, v71
	v_sub_f16_e32 v43, v73, v92
	ds_store_2addr_b32 v51, v20, v25 offset0:8 offset1:12
	ds_store_2addr_b32 v51, v26, v30 offset0:16 offset1:20
	v_pack_b32_f16 v9, v74, v76
	v_pack_b32_f16 v19, v113, v115
	ds_store_b32 v51, v6 offset:96
	v_or_b32_e32 v6, v8, v12
	v_sub_f16_e32 v118, v75, v22
	v_add_f16_e32 v119, v32, v77
	v_pack_b32_f16 v20, v28, v67
	v_pack_b32_f16 v25, v29, v69
	v_add_f16_e32 v22, v22, v75
	v_sub_f16_e32 v32, v77, v32
	v_add_f16_e32 v59, v92, v73
	ds_store_2addr_b32 v162, v5, v7 offset1:4
	ds_store_2addr_b32 v162, v9, v19 offset0:8 offset1:12
	ds_store_2addr_b32 v162, v20, v25 offset0:16 offset1:20
	v_pack_b32_f16 v5, v72, v91
	v_lshlrev_b32_e32 v163, 2, v6
	v_pack_b32_f16 v4, v4, v18
	v_pack_b32_f16 v6, v21, v43
	;; [unrolled: 1-line block ×7, first 2 shown]
	ds_store_b32 v162, v5 offset:96
	ds_store_2addr_b32 v163, v4, v6 offset1:4
	ds_store_2addr_b32 v163, v7, v8 offset0:8 offset1:12
	ds_store_2addr_b32 v163, v9, v12 offset0:16 offset1:20
	ds_store_b32 v163, v18 offset:96
	v_add_nc_u32_e32 v6, 0x1600, v96
	global_wb scope:SCOPE_SE
	s_wait_dscnt 0x0
	s_barrier_signal -1
	s_barrier_wait -1
	global_inv scope:SCOPE_SE
	ds_load_2addr_b32 v[36:37], v96 offset1:56
	ds_load_2addr_b32 v[4:5], v39 offset0:128 offset1:212
	ds_load_2addr_b32 v[34:35], v17 offset0:12 offset1:68
	ds_load_2addr_b32 v[32:33], v96 offset0:112 offset1:168
	ds_load_2addr_b32 v[30:31], v17 offset0:124 offset1:180
	ds_load_2addr_b32 v[28:29], v15 offset0:96 offset1:152
	ds_load_2addr_b32 v[26:27], v16 offset0:108 offset1:164
	ds_load_2addr_b32 v[24:25], v14 offset0:80 offset1:136
	ds_load_2addr_b32 v[22:23], v13 offset0:92 offset1:148
	ds_load_2addr_b32 v[20:21], v14 offset0:192 offset1:248
	ds_load_2addr_b32 v[18:19], v6 offset0:76 offset1:132
	ds_load_2addr_b32 v[16:17], v10 offset0:48 offset1:104
	ds_load_2addr_b32 v[14:15], v11 offset0:60 offset1:116
	ds_load_2addr_b32 v[12:13], v10 offset0:160 offset1:216
	ds_load_2addr_b32 v[10:11], v11 offset0:172 offset1:228
	ds_load_2addr_b32 v[8:9], v39 offset0:16 offset1:72
	ds_load_2addr_b32 v[6:7], v40 offset0:28 offset1:84
	v_lshlrev_b32_e32 v76, 2, v150
	v_lshlrev_b32_e32 v43, 2, v47
	;; [unrolled: 1-line block ×5, first 2 shown]
	s_and_saveexec_b32 s1, s0
	s_cbranch_execz .LBB0_11
; %bb.10:
	ds_load_b32 v58, v96 offset:3808
	ds_load_b32 v44, v96 offset:7728
	s_wait_dscnt 0x1
	v_lshrrev_b32_e32 v59, 16, v58
	s_wait_dscnt 0x0
	v_lshrrev_b32_e32 v46, 16, v44
.LBB0_11:
	s_wait_alu 0xfffe
	s_or_b32 exec_lo, exec_lo, s1
	v_add_co_u32 v60, s1, 0xffffffe4, v150
	s_wait_alu 0xf1ff
	v_add_co_ci_u32_e64 v61, null, 0, -1, s1
	v_cmp_lt_u16_e64 s1, 27, v150
	s_delay_alu instid0(VALU_DEP_3) | instskip(NEXT) | instid1(VALU_DEP_3)
	v_cndmask_b32_e64 v60, v60, v150, s0
	v_cndmask_b32_e64 v61, v61, 0, s0
	s_wait_alu 0xf1ff
	s_delay_alu instid0(VALU_DEP_3) | instskip(NEXT) | instid1(VALU_DEP_1)
	v_cndmask_b32_e64 v62, 0, 56, s1
	v_add_lshl_u32 v105, v60, v62, 2
	v_lshrrev_b16 v62, 2, v47
	v_lshlrev_b64_e32 v[60:61], 2, v[60:61]
	s_delay_alu instid0(VALU_DEP_2) | instskip(NEXT) | instid1(VALU_DEP_2)
	v_and_b32_e32 v62, 63, v62
	v_add_co_u32 v60, s1, s8, v60
	s_wait_alu 0xf1ff
	s_delay_alu instid0(VALU_DEP_3) | instskip(NEXT) | instid1(VALU_DEP_3)
	v_add_co_ci_u32_e64 v61, s1, s9, v61, s1
	v_mul_lo_u16 v62, v62, 37
	global_load_b32 v200, v[60:61], off offset:96
	v_lshrrev_b16 v73, 8, v62
	s_delay_alu instid0(VALU_DEP_1) | instskip(NEXT) | instid1(VALU_DEP_1)
	v_mul_lo_u16 v62, v73, 28
	v_sub_nc_u16 v74, v47, v62
	v_lshrrev_b16 v47, 2, v55
	s_delay_alu instid0(VALU_DEP_2) | instskip(NEXT) | instid1(VALU_DEP_2)
	v_and_b32_e32 v74, 0xff, v74
	v_and_b32_e32 v47, 0xffff, v47
	s_delay_alu instid0(VALU_DEP_1) | instskip(NEXT) | instid1(VALU_DEP_1)
	v_mul_u32_u24_e32 v47, 0x4925, v47
	v_lshrrev_b32_e32 v75, 17, v47
	s_delay_alu instid0(VALU_DEP_1) | instskip(NEXT) | instid1(VALU_DEP_1)
	v_mul_lo_u16 v47, v75, 28
	v_sub_nc_u16 v77, v55, v47
	v_lshrrev_b16 v47, 2, v56
	s_delay_alu instid0(VALU_DEP_1) | instskip(NEXT) | instid1(VALU_DEP_1)
	v_and_b32_e32 v47, 0xffff, v47
	v_mul_u32_u24_e32 v47, 0x4925, v47
	s_delay_alu instid0(VALU_DEP_1) | instskip(NEXT) | instid1(VALU_DEP_1)
	v_lshrrev_b32_e32 v78, 17, v47
	v_mul_lo_u16 v47, v78, 28
	s_delay_alu instid0(VALU_DEP_1) | instskip(SKIP_1) | instid1(VALU_DEP_2)
	v_sub_nc_u16 v79, v56, v47
	v_lshrrev_b16 v47, 2, v57
	v_and_b32_e32 v89, 0xffff, v79
	s_delay_alu instid0(VALU_DEP_2) | instskip(NEXT) | instid1(VALU_DEP_2)
	v_and_b32_e32 v47, 0xffff, v47
	v_lshlrev_b32_e32 v89, 2, v89
	s_delay_alu instid0(VALU_DEP_2) | instskip(NEXT) | instid1(VALU_DEP_1)
	v_mul_u32_u24_e32 v47, 0x4925, v47
	v_lshrrev_b32_e32 v72, 17, v47
	s_delay_alu instid0(VALU_DEP_1) | instskip(NEXT) | instid1(VALU_DEP_1)
	v_mul_lo_u16 v47, v72, 28
	v_sub_nc_u16 v80, v57, v47
	v_add_nc_u16 v47, v150, 0x1f8
	s_delay_alu instid0(VALU_DEP_2) | instskip(NEXT) | instid1(VALU_DEP_2)
	v_and_b32_e32 v90, 0xffff, v80
	v_lshrrev_b16 v55, 2, v47
	s_delay_alu instid0(VALU_DEP_2) | instskip(NEXT) | instid1(VALU_DEP_2)
	v_lshlrev_b32_e32 v90, 2, v90
	v_and_b32_e32 v55, 0xffff, v55
	s_delay_alu instid0(VALU_DEP_1) | instskip(NEXT) | instid1(VALU_DEP_1)
	v_mul_u32_u24_e32 v55, 0x4925, v55
	v_lshrrev_b32_e32 v70, 17, v55
	s_delay_alu instid0(VALU_DEP_1) | instskip(NEXT) | instid1(VALU_DEP_1)
	v_mul_lo_u16 v55, v70, 28
	v_sub_nc_u16 v71, v47, v55
	v_add_nc_u16 v47, v150, 0x230
	s_delay_alu instid0(VALU_DEP_2) | instskip(NEXT) | instid1(VALU_DEP_2)
	v_and_b32_e32 v91, 0xffff, v71
	v_lshrrev_b16 v55, 2, v47
	s_delay_alu instid0(VALU_DEP_2) | instskip(NEXT) | instid1(VALU_DEP_2)
	v_lshlrev_b32_e32 v91, 2, v91
	v_and_b32_e32 v55, 0xffff, v55
	s_delay_alu instid0(VALU_DEP_1) | instskip(NEXT) | instid1(VALU_DEP_1)
	;; [unrolled: 13-line block ×7, first 2 shown]
	v_mul_u32_u24_e32 v55, 0x4925, v55
	v_lshrrev_b32_e32 v56, 17, v55
	s_delay_alu instid0(VALU_DEP_1) | instskip(NEXT) | instid1(VALU_DEP_1)
	v_mul_lo_u16 v55, v56, 28
	v_sub_nc_u16 v57, v47, v55
	v_or_b32_e32 v55, 0x380, v150
	s_delay_alu instid0(VALU_DEP_2) | instskip(NEXT) | instid1(VALU_DEP_2)
	v_and_b32_e32 v101, 0xffff, v57
	v_lshrrev_b16 v47, 2, v55
	s_delay_alu instid0(VALU_DEP_2) | instskip(NEXT) | instid1(VALU_DEP_2)
	v_lshlrev_b32_e32 v101, 2, v101
	v_and_b32_e32 v47, 0xffff, v47
	s_delay_alu instid0(VALU_DEP_1) | instskip(NEXT) | instid1(VALU_DEP_1)
	v_mul_u32_u24_e32 v47, 0x4925, v47
	v_lshrrev_b32_e32 v47, 17, v47
	s_delay_alu instid0(VALU_DEP_1) | instskip(NEXT) | instid1(VALU_DEP_1)
	v_mul_lo_u16 v81, v47, 28
	v_sub_nc_u16 v55, v55, v81
	v_add_nc_u16 v81, v150, 0x3b8
	s_delay_alu instid0(VALU_DEP_2) | instskip(NEXT) | instid1(VALU_DEP_2)
	v_and_b32_e32 v103, 0xffff, v55
	v_lshrrev_b16 v82, 2, v81
	s_delay_alu instid0(VALU_DEP_2) | instskip(NEXT) | instid1(VALU_DEP_2)
	v_lshlrev_b32_e32 v103, 2, v103
	v_and_b32_e32 v82, 0xffff, v82
	s_delay_alu instid0(VALU_DEP_1) | instskip(NEXT) | instid1(VALU_DEP_1)
	v_mul_u32_u24_e32 v82, 0x4925, v82
	v_lshrrev_b32_e32 v82, 17, v82
	s_delay_alu instid0(VALU_DEP_1) | instskip(NEXT) | instid1(VALU_DEP_1)
	v_mul_lo_u16 v82, v82, 28
	v_sub_nc_u16 v81, v81, v82
	v_lshlrev_b32_e32 v82, 2, v74
	s_delay_alu instid0(VALU_DEP_2) | instskip(SKIP_3) | instid1(VALU_DEP_2)
	v_and_b32_e32 v81, 0xffff, v81
	global_load_b32 v199, v82, s[8:9] offset:96
	v_lshrrev_b16 v82, 2, v41
	v_lshlrev_b32_e32 v81, 2, v81
	v_and_b32_e32 v82, 63, v82
	s_delay_alu instid0(VALU_DEP_1) | instskip(NEXT) | instid1(VALU_DEP_1)
	v_mul_lo_u16 v82, v82, 37
	v_lshrrev_b16 v82, 8, v82
	s_delay_alu instid0(VALU_DEP_1) | instskip(NEXT) | instid1(VALU_DEP_1)
	v_mul_lo_u16 v83, v82, 28
	v_sub_nc_u16 v83, v41, v83
	s_delay_alu instid0(VALU_DEP_1) | instskip(NEXT) | instid1(VALU_DEP_1)
	v_and_b32_e32 v83, 0xff, v83
	v_lshlrev_b32_e32 v84, 2, v83
	global_load_b32 v198, v84, s[8:9] offset:96
	v_lshrrev_b16 v84, 2, v42
	s_delay_alu instid0(VALU_DEP_1) | instskip(NEXT) | instid1(VALU_DEP_1)
	v_and_b32_e32 v84, 63, v84
	v_mul_lo_u16 v84, v84, 37
	s_delay_alu instid0(VALU_DEP_1) | instskip(NEXT) | instid1(VALU_DEP_1)
	v_lshrrev_b16 v84, 8, v84
	v_mul_lo_u16 v85, v84, 28
	s_delay_alu instid0(VALU_DEP_1) | instskip(NEXT) | instid1(VALU_DEP_1)
	v_sub_nc_u16 v85, v42, v85
	v_and_b32_e32 v85, 0xff, v85
	s_delay_alu instid0(VALU_DEP_1) | instskip(SKIP_2) | instid1(VALU_DEP_1)
	v_lshlrev_b32_e32 v86, 2, v85
	global_load_b32 v197, v86, s[8:9] offset:96
	v_lshrrev_b16 v86, 2, v38
	v_and_b32_e32 v86, 0xffff, v86
	s_delay_alu instid0(VALU_DEP_1) | instskip(NEXT) | instid1(VALU_DEP_1)
	v_mul_u32_u24_e32 v86, 0x4925, v86
	v_lshrrev_b32_e32 v86, 17, v86
	s_delay_alu instid0(VALU_DEP_1) | instskip(NEXT) | instid1(VALU_DEP_1)
	v_mul_lo_u16 v87, v86, 28
	v_sub_nc_u16 v87, v38, v87
	s_delay_alu instid0(VALU_DEP_1) | instskip(NEXT) | instid1(VALU_DEP_1)
	v_and_b32_e32 v88, 0xffff, v87
	v_lshlrev_b32_e32 v88, 2, v88
	global_load_b32 v195, v88, s[8:9] offset:96
	v_and_b32_e32 v88, 0xffff, v77
	s_delay_alu instid0(VALU_DEP_1)
	v_lshlrev_b32_e32 v88, 2, v88
	s_clause 0x2
	global_load_b32 v196, v88, s[8:9] offset:96
	global_load_b32 v192, v89, s[8:9] offset:96
	;; [unrolled: 1-line block ×3, first 2 shown]
	s_wait_loadcnt 0x7
	v_lshrrev_b32_e32 v90, 16, v200
	s_wait_dscnt 0xf
	v_lshrrev_b32_e32 v88, 16, v5
	s_delay_alu instid0(VALU_DEP_2) | instskip(NEXT) | instid1(VALU_DEP_1)
	v_mul_f16_e32 v89, v5, v90
	v_fmac_f16_e64 v89, v88, v200
	v_mul_f16_e32 v88, v88, v90
	s_delay_alu instid0(VALU_DEP_1) | instskip(SKIP_1) | instid1(VALU_DEP_2)
	v_fma_f16 v5, v5, v200, -v88
	v_lshrrev_b32_e32 v88, 16, v36
	v_sub_f16_e32 v5, v36, v5
	s_delay_alu instid0(VALU_DEP_2) | instskip(NEXT) | instid1(VALU_DEP_1)
	v_sub_f16_e32 v89, v88, v89
	v_fma_f16 v88, v88, 2.0, -v89
	s_delay_alu instid0(VALU_DEP_3) | instskip(SKIP_2) | instid1(VALU_DEP_2)
	v_pack_b32_f16 v89, v5, v89
	v_fma_f16 v5, v36, 2.0, -v5
	v_lshrrev_b16 v36, 2, v50
	v_pack_b32_f16 v5, v5, v88
	s_delay_alu instid0(VALU_DEP_2) | instskip(NEXT) | instid1(VALU_DEP_1)
	v_and_b32_e32 v36, 0xffff, v36
	v_mul_u32_u24_e32 v36, 0x4925, v36
	s_delay_alu instid0(VALU_DEP_1) | instskip(NEXT) | instid1(VALU_DEP_1)
	v_lshrrev_b32_e32 v36, 17, v36
	v_mul_lo_u16 v88, v36, 28
	s_delay_alu instid0(VALU_DEP_1) | instskip(NEXT) | instid1(VALU_DEP_1)
	v_sub_nc_u16 v88, v50, v88
	v_and_b32_e32 v90, 0xffff, v88
	s_delay_alu instid0(VALU_DEP_1)
	v_lshlrev_b32_e32 v90, 2, v90
	s_clause 0x8
	global_load_b32 v194, v90, s[8:9] offset:96
	global_load_b32 v193, v91, s[8:9] offset:96
	;; [unrolled: 1-line block ×9, first 2 shown]
	scratch_store_b32 off, v81, off offset:8 ; 4-byte Folded Spill
	global_load_b32 v176, v81, s[8:9] offset:96
	global_wb scope:SCOPE_SE
	s_wait_storecnt 0x0
	s_wait_loadcnt_dscnt 0x0
	s_barrier_signal -1
	s_barrier_wait -1
	global_inv scope:SCOPE_SE
	ds_store_2addr_b32 v105, v5, v89 offset1:28
	v_and_b32_e32 v5, 0xffff, v73
	s_delay_alu instid0(VALU_DEP_1) | instskip(NEXT) | instid1(VALU_DEP_1)
	v_mul_u32_u24_e32 v5, 56, v5
	v_add_lshl_u32 v74, v5, v74, 2
	v_lshrrev_b32_e32 v5, 16, v34
	scratch_store_b32 off, v105, off offset:12 ; 4-byte Folded Spill
	v_lshrrev_b32_e32 v81, 16, v199
	s_delay_alu instid0(VALU_DEP_1) | instskip(NEXT) | instid1(VALU_DEP_1)
	v_mul_f16_e32 v73, v34, v81
	v_fmac_f16_e64 v73, v5, v199
	v_mul_f16_e32 v5, v5, v81
	s_delay_alu instid0(VALU_DEP_1) | instskip(SKIP_1) | instid1(VALU_DEP_2)
	v_fma_f16 v5, v34, v199, -v5
	v_lshrrev_b32_e32 v34, 16, v37
	v_sub_f16_e32 v5, v37, v5
	s_delay_alu instid0(VALU_DEP_2) | instskip(NEXT) | instid1(VALU_DEP_2)
	v_sub_f16_e32 v73, v34, v73
	v_fma_f16 v37, v37, 2.0, -v5
	s_delay_alu instid0(VALU_DEP_2) | instskip(SKIP_1) | instid1(VALU_DEP_2)
	v_fma_f16 v34, v34, 2.0, -v73
	v_pack_b32_f16 v5, v5, v73
	v_pack_b32_f16 v34, v37, v34
	ds_store_2addr_b32 v74, v34, v5 offset1:28
	v_lshrrev_b32_e32 v5, 16, v35
	v_lshrrev_b32_e32 v37, 16, v198
	s_delay_alu instid0(VALU_DEP_1) | instskip(NEXT) | instid1(VALU_DEP_1)
	v_mul_f16_e32 v34, v5, v37
	v_fma_f16 v34, v35, v198, -v34
	v_mul_f16_e32 v35, v35, v37
	v_and_b32_e32 v37, 0xffff, v82
	s_delay_alu instid0(VALU_DEP_3) | instskip(NEXT) | instid1(VALU_DEP_3)
	v_sub_f16_e32 v34, v32, v34
	v_fmac_f16_e64 v35, v5, v198
	v_lshrrev_b32_e32 v5, 16, v32
	s_delay_alu instid0(VALU_DEP_4) | instskip(NEXT) | instid1(VALU_DEP_4)
	v_mul_u32_u24_e32 v37, 56, v37
	v_fma_f16 v32, v32, 2.0, -v34
	s_delay_alu instid0(VALU_DEP_3) | instskip(NEXT) | instid1(VALU_DEP_3)
	v_sub_f16_e32 v35, v5, v35
	v_add_lshl_u32 v37, v37, v83, 2
	s_delay_alu instid0(VALU_DEP_2) | instskip(SKIP_1) | instid1(VALU_DEP_2)
	v_fma_f16 v5, v5, 2.0, -v35
	v_pack_b32_f16 v35, v34, v35
	v_pack_b32_f16 v5, v32, v5
	ds_store_2addr_b32 v37, v5, v35 offset1:28
	v_and_b32_e32 v5, 0xffff, v84
	v_lshrrev_b32_e32 v35, 16, v197
	s_delay_alu instid0(VALU_DEP_2) | instskip(NEXT) | instid1(VALU_DEP_2)
	v_mul_u32_u24_e32 v5, 56, v5
	v_mul_f16_e32 v32, v30, v35
	s_delay_alu instid0(VALU_DEP_2) | instskip(SKIP_1) | instid1(VALU_DEP_1)
	v_add_lshl_u32 v34, v5, v85, 2
	v_lshrrev_b32_e32 v5, 16, v30
	v_fmac_f16_e64 v32, v5, v197
	v_mul_f16_e32 v5, v5, v35
	s_delay_alu instid0(VALU_DEP_1) | instskip(SKIP_1) | instid1(VALU_DEP_2)
	v_fma_f16 v5, v30, v197, -v5
	v_lshrrev_b32_e32 v30, 16, v33
	v_sub_f16_e32 v5, v33, v5
	s_delay_alu instid0(VALU_DEP_2) | instskip(NEXT) | instid1(VALU_DEP_2)
	v_sub_f16_e32 v32, v30, v32
	v_fma_f16 v33, v33, 2.0, -v5
	s_delay_alu instid0(VALU_DEP_2) | instskip(SKIP_1) | instid1(VALU_DEP_2)
	v_fma_f16 v30, v30, 2.0, -v32
	v_pack_b32_f16 v5, v5, v32
	v_pack_b32_f16 v30, v33, v30
	ds_store_2addr_b32 v34, v30, v5 offset1:28
	v_lshrrev_b32_e32 v5, 16, v31
	v_lshrrev_b32_e32 v32, 16, v195
	s_delay_alu instid0(VALU_DEP_1) | instskip(NEXT) | instid1(VALU_DEP_1)
	v_mul_f16_e32 v30, v5, v32
	v_fma_f16 v30, v31, v195, -v30
	v_mul_f16_e32 v31, v31, v32
	v_mad_u16 v32, v86, 56, v87
	s_delay_alu instid0(VALU_DEP_3) | instskip(NEXT) | instid1(VALU_DEP_3)
	v_sub_f16_e32 v30, v28, v30
	v_fmac_f16_e64 v31, v5, v195
	v_lshrrev_b32_e32 v5, 16, v28
	s_delay_alu instid0(VALU_DEP_3) | instskip(NEXT) | instid1(VALU_DEP_2)
	v_fma_f16 v28, v28, 2.0, -v30
	v_sub_f16_e32 v31, v5, v31
	s_delay_alu instid0(VALU_DEP_1) | instskip(SKIP_1) | instid1(VALU_DEP_2)
	v_fma_f16 v5, v5, 2.0, -v31
	v_pack_b32_f16 v31, v30, v31
	v_pack_b32_f16 v5, v28, v5
	v_and_b32_e32 v28, 0xffff, v32
	s_delay_alu instid0(VALU_DEP_1) | instskip(SKIP_3) | instid1(VALU_DEP_2)
	v_lshlrev_b32_e32 v28, 2, v28
	ds_store_2addr_b32 v28, v5, v31 offset1:28
	v_mad_u16 v5, v75, 56, v77
	v_lshrrev_b32_e32 v31, 16, v196
	v_and_b32_e32 v5, 0xffff, v5
	s_delay_alu instid0(VALU_DEP_2) | instskip(NEXT) | instid1(VALU_DEP_2)
	v_mul_f16_e32 v30, v26, v31
	v_lshlrev_b32_e32 v5, 2, v5
	scratch_store_b32 off, v28, off offset:36 ; 4-byte Folded Spill
	v_lshrrev_b32_e32 v28, 16, v26
	scratch_store_b32 off, v5, off offset:48 ; 4-byte Folded Spill
	v_fmac_f16_e64 v30, v28, v196
	v_mul_f16_e32 v28, v28, v31
	s_delay_alu instid0(VALU_DEP_1) | instskip(SKIP_1) | instid1(VALU_DEP_2)
	v_fma_f16 v26, v26, v196, -v28
	v_lshrrev_b32_e32 v28, 16, v29
	v_sub_f16_e32 v26, v29, v26
	s_delay_alu instid0(VALU_DEP_2) | instskip(NEXT) | instid1(VALU_DEP_2)
	v_sub_f16_e32 v30, v28, v30
	v_fma_f16 v29, v29, 2.0, -v26
	s_delay_alu instid0(VALU_DEP_2) | instskip(SKIP_1) | instid1(VALU_DEP_2)
	v_fma_f16 v28, v28, 2.0, -v30
	v_pack_b32_f16 v26, v26, v30
	v_pack_b32_f16 v28, v29, v28
	ds_store_2addr_b32 v5, v28, v26 offset1:28
	v_lshrrev_b32_e32 v5, 16, v27
	v_lshrrev_b32_e32 v28, 16, v192
	s_delay_alu instid0(VALU_DEP_1) | instskip(NEXT) | instid1(VALU_DEP_1)
	v_mul_f16_e32 v26, v5, v28
	v_fma_f16 v26, v27, v192, -v26
	v_mul_f16_e32 v27, v27, v28
	v_mad_u16 v28, v78, 56, v79
	s_delay_alu instid0(VALU_DEP_3) | instskip(NEXT) | instid1(VALU_DEP_3)
	v_sub_f16_e32 v26, v24, v26
	v_fmac_f16_e64 v27, v5, v192
	v_lshrrev_b32_e32 v5, 16, v24
	s_delay_alu instid0(VALU_DEP_3) | instskip(NEXT) | instid1(VALU_DEP_2)
	v_fma_f16 v24, v24, 2.0, -v26
	v_sub_f16_e32 v27, v5, v27
	s_delay_alu instid0(VALU_DEP_1) | instskip(SKIP_1) | instid1(VALU_DEP_2)
	v_fma_f16 v5, v5, 2.0, -v27
	v_pack_b32_f16 v27, v26, v27
	v_pack_b32_f16 v5, v24, v5
	v_and_b32_e32 v24, 0xffff, v28
	s_delay_alu instid0(VALU_DEP_1) | instskip(SKIP_3) | instid1(VALU_DEP_2)
	v_lshlrev_b32_e32 v24, 2, v24
	ds_store_2addr_b32 v24, v5, v27 offset1:28
	v_mad_u16 v5, v72, 56, v80
	v_lshrrev_b32_e32 v27, 16, v188
	v_and_b32_e32 v5, 0xffff, v5
	s_delay_alu instid0(VALU_DEP_2) | instskip(NEXT) | instid1(VALU_DEP_2)
	v_mul_f16_e32 v26, v22, v27
	v_lshlrev_b32_e32 v5, 2, v5
	scratch_store_b32 off, v24, off offset:56 ; 4-byte Folded Spill
	v_lshrrev_b32_e32 v24, 16, v22
	scratch_store_b32 off, v5, off offset:60 ; 4-byte Folded Spill
	v_fmac_f16_e64 v26, v24, v188
	v_mul_f16_e32 v24, v24, v27
	s_delay_alu instid0(VALU_DEP_1) | instskip(SKIP_1) | instid1(VALU_DEP_2)
	v_fma_f16 v22, v22, v188, -v24
	v_lshrrev_b32_e32 v24, 16, v25
	v_sub_f16_e32 v22, v25, v22
	s_delay_alu instid0(VALU_DEP_2) | instskip(NEXT) | instid1(VALU_DEP_2)
	v_sub_f16_e32 v26, v24, v26
	v_fma_f16 v25, v25, 2.0, -v22
	s_delay_alu instid0(VALU_DEP_2) | instskip(SKIP_1) | instid1(VALU_DEP_2)
	v_fma_f16 v24, v24, 2.0, -v26
	v_pack_b32_f16 v22, v22, v26
	v_pack_b32_f16 v24, v25, v24
	ds_store_2addr_b32 v5, v24, v22 offset1:28
	v_lshrrev_b32_e32 v5, 16, v23
	v_lshrrev_b32_e32 v24, 16, v194
	s_delay_alu instid0(VALU_DEP_1) | instskip(NEXT) | instid1(VALU_DEP_1)
	v_mul_f16_e32 v22, v5, v24
	v_fma_f16 v22, v23, v194, -v22
	v_mul_f16_e32 v23, v23, v24
	v_mad_u16 v24, v36, 56, v88
	s_delay_alu instid0(VALU_DEP_3) | instskip(NEXT) | instid1(VALU_DEP_3)
	v_sub_f16_e32 v22, v20, v22
	v_fmac_f16_e64 v23, v5, v194
	v_lshrrev_b32_e32 v5, 16, v20
	s_delay_alu instid0(VALU_DEP_3) | instskip(NEXT) | instid1(VALU_DEP_2)
	v_fma_f16 v20, v20, 2.0, -v22
	v_sub_f16_e32 v23, v5, v23
	s_delay_alu instid0(VALU_DEP_1) | instskip(SKIP_1) | instid1(VALU_DEP_2)
	v_fma_f16 v5, v5, 2.0, -v23
	v_pack_b32_f16 v23, v22, v23
	v_pack_b32_f16 v5, v20, v5
	v_and_b32_e32 v20, 0xffff, v24
	s_delay_alu instid0(VALU_DEP_1) | instskip(SKIP_4) | instid1(VALU_DEP_2)
	v_lshlrev_b32_e32 v20, 2, v20
	scratch_store_b32 off, v74, off offset:16 ; 4-byte Folded Spill
	ds_store_2addr_b32 v20, v5, v23 offset1:28
	v_mad_u16 v5, v70, 56, v71
	v_lshrrev_b32_e32 v23, 16, v193
	v_and_b32_e32 v5, 0xffff, v5
	s_delay_alu instid0(VALU_DEP_2) | instskip(NEXT) | instid1(VALU_DEP_2)
	v_mul_f16_e32 v22, v18, v23
	v_lshlrev_b32_e32 v5, 2, v5
	scratch_store_b32 off, v20, off offset:20 ; 4-byte Folded Spill
	v_lshrrev_b32_e32 v20, 16, v18
	s_clause 0x2
	scratch_store_b32 off, v37, off offset:32
	scratch_store_b32 off, v34, off offset:28
	;; [unrolled: 1-line block ×3, first 2 shown]
	v_fmac_f16_e64 v22, v20, v193
	v_mul_f16_e32 v20, v20, v23
	s_delay_alu instid0(VALU_DEP_1) | instskip(SKIP_1) | instid1(VALU_DEP_2)
	v_fma_f16 v18, v18, v193, -v20
	v_lshrrev_b32_e32 v20, 16, v21
	v_sub_f16_e32 v18, v21, v18
	s_delay_alu instid0(VALU_DEP_2) | instskip(NEXT) | instid1(VALU_DEP_2)
	v_sub_f16_e32 v22, v20, v22
	v_fma_f16 v21, v21, 2.0, -v18
	s_delay_alu instid0(VALU_DEP_2) | instskip(SKIP_1) | instid1(VALU_DEP_2)
	v_fma_f16 v20, v20, 2.0, -v22
	v_pack_b32_f16 v18, v18, v22
	v_pack_b32_f16 v20, v21, v20
	ds_store_2addr_b32 v5, v20, v18 offset1:28
	v_lshrrev_b32_e32 v5, 16, v19
	v_lshrrev_b32_e32 v20, 16, v191
	s_delay_alu instid0(VALU_DEP_1) | instskip(NEXT) | instid1(VALU_DEP_1)
	v_mul_f16_e32 v18, v5, v20
	v_fma_f16 v18, v19, v191, -v18
	v_mul_f16_e32 v19, v19, v20
	v_mad_u16 v20, v68, 56, v69
	s_delay_alu instid0(VALU_DEP_3) | instskip(NEXT) | instid1(VALU_DEP_3)
	v_sub_f16_e32 v18, v16, v18
	v_fmac_f16_e64 v19, v5, v191
	v_lshrrev_b32_e32 v5, 16, v16
	s_delay_alu instid0(VALU_DEP_3) | instskip(NEXT) | instid1(VALU_DEP_2)
	v_fma_f16 v16, v16, 2.0, -v18
	v_sub_f16_e32 v19, v5, v19
	s_delay_alu instid0(VALU_DEP_1) | instskip(SKIP_1) | instid1(VALU_DEP_2)
	v_fma_f16 v5, v5, 2.0, -v19
	v_pack_b32_f16 v19, v18, v19
	v_pack_b32_f16 v5, v16, v5
	v_and_b32_e32 v16, 0xffff, v20
	s_delay_alu instid0(VALU_DEP_1) | instskip(SKIP_3) | instid1(VALU_DEP_2)
	v_lshlrev_b32_e32 v16, 2, v16
	ds_store_2addr_b32 v16, v5, v19 offset1:28
	v_mad_u16 v5, v66, 56, v67
	v_lshrrev_b32_e32 v19, 16, v190
	v_and_b32_e32 v5, 0xffff, v5
	s_delay_alu instid0(VALU_DEP_2) | instskip(NEXT) | instid1(VALU_DEP_2)
	v_mul_f16_e32 v18, v14, v19
	v_lshlrev_b32_e32 v5, 2, v5
	scratch_store_b32 off, v16, off offset:40 ; 4-byte Folded Spill
	v_lshrrev_b32_e32 v16, 16, v14
	scratch_store_b32 off, v5, off offset:44 ; 4-byte Folded Spill
	v_fmac_f16_e64 v18, v16, v190
	v_mul_f16_e32 v16, v16, v19
	s_delay_alu instid0(VALU_DEP_1) | instskip(SKIP_1) | instid1(VALU_DEP_2)
	v_fma_f16 v14, v14, v190, -v16
	v_lshrrev_b32_e32 v16, 16, v17
	v_sub_f16_e32 v14, v17, v14
	s_delay_alu instid0(VALU_DEP_2) | instskip(NEXT) | instid1(VALU_DEP_2)
	v_sub_f16_e32 v18, v16, v18
	v_fma_f16 v17, v17, 2.0, -v14
	s_delay_alu instid0(VALU_DEP_2) | instskip(SKIP_1) | instid1(VALU_DEP_2)
	v_fma_f16 v16, v16, 2.0, -v18
	v_pack_b32_f16 v14, v14, v18
	v_pack_b32_f16 v16, v17, v16
	ds_store_2addr_b32 v5, v16, v14 offset1:28
	v_lshrrev_b32_e32 v5, 16, v15
	v_lshrrev_b32_e32 v16, 16, v189
	s_delay_alu instid0(VALU_DEP_1) | instskip(NEXT) | instid1(VALU_DEP_1)
	v_mul_f16_e32 v14, v5, v16
	v_fma_f16 v14, v15, v189, -v14
	v_mul_f16_e32 v15, v15, v16
	v_mad_u16 v16, v64, 56, v65
	s_delay_alu instid0(VALU_DEP_3) | instskip(NEXT) | instid1(VALU_DEP_3)
	v_sub_f16_e32 v14, v12, v14
	v_fmac_f16_e64 v15, v5, v189
	v_lshrrev_b32_e32 v5, 16, v12
	s_delay_alu instid0(VALU_DEP_3) | instskip(NEXT) | instid1(VALU_DEP_2)
	v_fma_f16 v12, v12, 2.0, -v14
	v_sub_f16_e32 v15, v5, v15
	s_delay_alu instid0(VALU_DEP_1) | instskip(SKIP_2) | instid1(VALU_DEP_3)
	v_fma_f16 v5, v5, 2.0, -v15
	v_pack_b32_f16 v15, v14, v15
	v_lshrrev_b32_e32 v14, 16, v187
	v_pack_b32_f16 v5, v12, v5
	v_and_b32_e32 v12, 0xffff, v16
	s_delay_alu instid0(VALU_DEP_1) | instskip(SKIP_4) | instid1(VALU_DEP_1)
	v_lshlrev_b32_e32 v12, 2, v12
	scratch_store_b32 off, v12, off offset:52 ; 4-byte Folded Spill
	ds_store_2addr_b32 v12, v5, v15 offset1:28
	v_lshrrev_b32_e32 v5, 16, v10
	v_mul_f16_e32 v12, v10, v14
	v_fmac_f16_e64 v12, v5, v187
	v_mul_f16_e32 v5, v5, v14
	v_mad_u16 v14, v62, 56, v63
	s_delay_alu instid0(VALU_DEP_2) | instskip(SKIP_1) | instid1(VALU_DEP_2)
	v_fma_f16 v5, v10, v187, -v5
	v_lshrrev_b32_e32 v10, 16, v13
	v_sub_f16_e32 v5, v13, v5
	s_delay_alu instid0(VALU_DEP_2) | instskip(NEXT) | instid1(VALU_DEP_2)
	v_sub_f16_e32 v12, v10, v12
	v_fma_f16 v13, v13, 2.0, -v5
	s_delay_alu instid0(VALU_DEP_2) | instskip(SKIP_2) | instid1(VALU_DEP_3)
	v_fma_f16 v10, v10, 2.0, -v12
	v_pack_b32_f16 v5, v5, v12
	v_and_b32_e32 v12, 0xffff, v14
	v_pack_b32_f16 v10, v13, v10
	s_delay_alu instid0(VALU_DEP_2) | instskip(SKIP_4) | instid1(VALU_DEP_1)
	v_lshlrev_b32_e32 v12, 2, v12
	scratch_store_b32 off, v12, off offset:64 ; 4-byte Folded Spill
	ds_store_2addr_b32 v12, v10, v5 offset1:28
	v_lshrrev_b32_e32 v5, 16, v11
	v_lshrrev_b32_e32 v12, 16, v186
	v_mul_f16_e32 v10, v5, v12
	s_delay_alu instid0(VALU_DEP_1) | instskip(SKIP_2) | instid1(VALU_DEP_3)
	v_fma_f16 v10, v11, v186, -v10
	v_mul_f16_e32 v11, v11, v12
	v_lshrrev_b32_e32 v12, 16, v8
	v_sub_f16_e32 v10, v8, v10
	s_delay_alu instid0(VALU_DEP_3) | instskip(SKIP_1) | instid1(VALU_DEP_3)
	v_fmac_f16_e64 v11, v5, v186
	v_mad_u16 v5, v60, 56, v61
	v_fma_f16 v8, v8, 2.0, -v10
	s_delay_alu instid0(VALU_DEP_3) | instskip(NEXT) | instid1(VALU_DEP_3)
	v_sub_f16_e32 v11, v12, v11
	v_and_b32_e32 v5, 0xffff, v5
	s_delay_alu instid0(VALU_DEP_2) | instskip(SKIP_1) | instid1(VALU_DEP_3)
	v_fma_f16 v12, v12, 2.0, -v11
	v_pack_b32_f16 v10, v10, v11
	v_lshlrev_b32_e32 v5, 2, v5
	s_delay_alu instid0(VALU_DEP_3) | instskip(SKIP_4) | instid1(VALU_DEP_2)
	v_pack_b32_f16 v8, v8, v12
	scratch_store_b32 off, v5, off offset:68 ; 4-byte Folded Spill
	ds_store_2addr_b32 v5, v8, v10 offset1:28
	v_lshrrev_b32_e32 v10, 16, v185
	v_lshrrev_b32_e32 v5, 16, v6
	v_mul_f16_e32 v8, v6, v10
	s_delay_alu instid0(VALU_DEP_1) | instskip(SKIP_2) | instid1(VALU_DEP_2)
	v_fmac_f16_e64 v8, v5, v185
	v_mul_f16_e32 v5, v5, v10
	v_mad_u16 v10, v56, 56, v57
	v_fma_f16 v5, v6, v185, -v5
	v_lshrrev_b32_e32 v6, 16, v9
	s_delay_alu instid0(VALU_DEP_2) | instskip(NEXT) | instid1(VALU_DEP_2)
	v_sub_f16_e32 v5, v9, v5
	v_sub_f16_e32 v8, v6, v8
	s_delay_alu instid0(VALU_DEP_2) | instskip(NEXT) | instid1(VALU_DEP_2)
	v_fma_f16 v9, v9, 2.0, -v5
	v_fma_f16 v6, v6, 2.0, -v8
	v_pack_b32_f16 v5, v5, v8
	v_and_b32_e32 v8, 0xffff, v10
	s_delay_alu instid0(VALU_DEP_3) | instskip(NEXT) | instid1(VALU_DEP_2)
	v_pack_b32_f16 v6, v9, v6
	v_lshlrev_b32_e32 v8, 2, v8
	scratch_store_b32 off, v8, off offset:72 ; 4-byte Folded Spill
	ds_store_2addr_b32 v8, v6, v5 offset1:28
	v_lshrrev_b32_e32 v5, 16, v7
	v_lshrrev_b32_e32 v8, 16, v183
	s_delay_alu instid0(VALU_DEP_1) | instskip(NEXT) | instid1(VALU_DEP_1)
	v_mul_f16_e32 v6, v5, v8
	v_fma_f16 v6, v7, v183, -v6
	v_mul_f16_e32 v7, v7, v8
	v_mad_u16 v8, v47, 56, v55
	s_delay_alu instid0(VALU_DEP_2) | instskip(NEXT) | instid1(VALU_DEP_4)
	v_fmac_f16_e64 v7, v5, v183
	v_sub_f16_e32 v5, v4, v6
	v_lshrrev_b32_e32 v6, 16, v4
	s_delay_alu instid0(VALU_DEP_2) | instskip(NEXT) | instid1(VALU_DEP_2)
	v_fma_f16 v4, v4, 2.0, -v5
	v_sub_f16_e32 v7, v6, v7
	s_delay_alu instid0(VALU_DEP_1) | instskip(SKIP_1) | instid1(VALU_DEP_2)
	v_fma_f16 v6, v6, 2.0, -v7
	v_pack_b32_f16 v5, v5, v7
	v_pack_b32_f16 v4, v4, v6
	v_and_b32_e32 v6, 0xffff, v8
	s_delay_alu instid0(VALU_DEP_1)
	v_lshlrev_b32_e32 v6, 2, v6
	ds_store_2addr_b32 v6, v4, v5 offset1:28
	v_lshrrev_b32_e32 v5, 16, v176
	scratch_store_b32 off, v6, off offset:76 ; 4-byte Folded Spill
	v_mul_f16_e32 v4, v46, v5
	v_mul_f16_e32 v5, v44, v5
	s_delay_alu instid0(VALU_DEP_2) | instskip(NEXT) | instid1(VALU_DEP_2)
	v_fma_f16 v4, v44, v176, -v4
	v_fmac_f16_e64 v5, v46, v176
	s_delay_alu instid0(VALU_DEP_2) | instskip(NEXT) | instid1(VALU_DEP_2)
	v_sub_f16_e32 v126, v58, v4
	v_sub_f16_e32 v127, v59, v5
	s_and_saveexec_b32 s1, s0
	s_cbranch_execz .LBB0_13
; %bb.12:
	s_delay_alu instid0(VALU_DEP_2) | instskip(NEXT) | instid1(VALU_DEP_2)
	v_fma_f16 v4, v58, 2.0, -v126
	v_fma_f16 v5, v59, 2.0, -v127
	v_perm_b32 v6, v127, v126, 0x5040100
	s_delay_alu instid0(VALU_DEP_2)
	v_pack_b32_f16 v4, v4, v5
	scratch_load_b32 v5, off, off offset:8  ; 4-byte Folded Reload
	s_wait_loadcnt 0x0
	v_add_nc_u32_e32 v5, 0x1c00, v5
	ds_store_2addr_b32 v5, v4, v6 offset0:112 offset1:140
.LBB0_13:
	s_wait_alu 0xfffe
	s_or_b32 exec_lo, exec_lo, s1
	v_mad_co_u64_u32 v[8:9], null, v150, 24, s[8:9]
	global_wb scope:SCOPE_SE
	s_wait_storecnt_dscnt 0x0
	s_barrier_signal -1
	s_barrier_wait -1
	global_inv scope:SCOPE_SE
	v_add_nc_u32_e32 v77, 0x200, v96
	v_add_nc_u32_e32 v78, 0x1800, v96
	s_clause 0x1
	global_load_b128 v[4:7], v[8:9], off offset:208
	global_load_b64 v[55:56], v[8:9], off offset:224
	v_add_nc_u32_e32 v79, 0x800, v96
	ds_load_2addr_b32 v[20:21], v77 offset0:96 offset1:152
	ds_load_2addr_b32 v[24:25], v78 offset0:144 offset1:200
	v_add_nc_u32_e32 v184, 0x1400, v96
	ds_load_2addr_b32 v[26:27], v79 offset0:48 offset1:104
	ds_load_2addr_b32 v[22:23], v184 offset0:64 offset1:120
	v_lshrrev_b16 v10, 3, v38
	v_add_nc_u32_e32 v157, 0xc00, v96
	v_add_nc_u32_e32 v159, 0x1000, v96
	ds_load_2addr_b32 v[30:31], v96 offset1:56
	v_lshrrev_b16 v8, 3, v41
	v_and_b32_e32 v10, 0xffff, v10
	v_lshrrev_b16 v9, 3, v42
	ds_load_2addr_b32 v[28:29], v159 offset0:96 offset1:152
	v_add_nc_u32_e32 v81, 0x1200, v96
	v_and_b32_e32 v8, 31, v8
	v_mul_u32_u24_e32 v10, 0x2493, v10
	v_and_b32_e32 v9, 31, v9
	v_add_nc_u32_e32 v201, 0x1c00, v96
	s_wait_dscnt 0x5
	v_lshrrev_b32_e32 v11, 16, v21
	s_wait_dscnt 0x4
	v_lshrrev_b32_e32 v12, 16, v24
	v_lshrrev_b32_e32 v10, 16, v10
	v_mul_lo_u16 v8, v8, 37
	v_mul_lo_u16 v9, v9, 37
	v_add_nc_u32_e32 v160, 0x400, v96
	s_wait_dscnt 0x2
	v_lshrrev_b32_e32 v13, 16, v23
	v_mul_lo_u16 v10, v10, 56
	v_lshrrev_b16 v8, 8, v8
	v_lshrrev_b16 v9, 8, v9
	v_add_nc_u32_e32 v80, 0xe00, v96
	s_add_nc_u64 s[2:3], s[12:13], 0x1ea0
	v_sub_nc_u16 v32, v38, v10
	v_lshrrev_b32_e32 v10, 16, v26
	v_mul_lo_u16 v8, v8, 56
	v_mul_lo_u16 v9, v9, 56
	s_delay_alu instid0(VALU_DEP_2) | instskip(NEXT) | instid1(VALU_DEP_2)
	v_sub_nc_u16 v8, v41, v8
	v_sub_nc_u16 v9, v42, v9
	s_delay_alu instid0(VALU_DEP_2) | instskip(NEXT) | instid1(VALU_DEP_2)
	v_and_b32_e32 v107, 0xff, v8
	v_and_b32_e32 v109, 0xff, v9
	s_delay_alu instid0(VALU_DEP_2) | instskip(NEXT) | instid1(VALU_DEP_2)
	v_lshlrev_b32_e32 v241, 2, v107
	v_lshlrev_b32_e32 v242, 2, v109
	s_wait_loadcnt 0x1
	v_lshrrev_b32_e32 v237, 16, v4
	s_wait_loadcnt 0x0
	v_lshrrev_b32_e32 v235, 16, v56
	v_lshrrev_b32_e32 v236, 16, v55
	;; [unrolled: 1-line block ×4, first 2 shown]
	v_mul_f16_e64 v16, v21, v237
	v_mul_f16_e64 v17, v24, v235
	;; [unrolled: 1-line block ×4, first 2 shown]
	v_lshrrev_b32_e32 v240, 16, v7
	v_fmac_f16_e32 v16, v11, v4
	v_fmac_f16_e32 v17, v12, v56
	v_mul_f16_e64 v12, v23, v236
	v_fma_f16 v15, v24, v56, -v15
	v_mul_f16_e64 v11, v26, v238
	v_fma_f16 v14, v21, v4, -v14
	v_add_f16_e32 v35, v16, v17
	v_fmac_f16_e32 v12, v13, v55
	v_mul_f16_e64 v13, v13, v236
	v_fmac_f16_e32 v11, v10, v5
	v_mul_f16_e64 v10, v10, v238
	v_add_f16_e32 v33, v14, v15
	v_sub_f16_e32 v21, v14, v15
	v_fma_f16 v13, v23, v55, -v13
	ds_load_2addr_b32 v[23:24], v157 offset0:16 offset1:72
	v_fma_f16 v10, v26, v5, -v10
	v_add_f16_e32 v38, v11, v12
	v_sub_f16_e32 v37, v11, v12
	s_wait_dscnt 0x1
	v_lshrrev_b32_e32 v11, 16, v28
	v_mul_f16_e64 v15, v28, v240
	v_add_f16_e32 v26, v10, v13
	v_sub_f16_e32 v36, v10, v13
	v_sub_f16_e32 v34, v16, v17
	v_lshrrev_b32_e32 v16, 16, v30
	v_fmac_f16_e32 v15, v11, v7
	v_mul_f16_e64 v11, v11, v240
	s_delay_alu instid0(VALU_DEP_1) | instskip(SKIP_3) | instid1(VALU_DEP_1)
	v_fma_f16 v11, v28, v7, -v11
	s_wait_dscnt 0x0
	v_lshrrev_b32_e32 v10, 16, v24
	v_mul_f16_e64 v14, v24, v239
	v_fmac_f16_e32 v14, v10, v6
	v_mul_f16_e64 v10, v10, v239
	s_delay_alu instid0(VALU_DEP_2) | instskip(NEXT) | instid1(VALU_DEP_2)
	v_add_f16_e32 v13, v14, v15
	v_fma_f16 v10, v24, v6, -v10
	ds_load_b32 v24, v96 offset:7616
	ds_load_2addr_b32 v[41:42], v96 offset0:112 offset1:168
	ds_load_2addr_b32 v[46:47], v160 offset0:80 offset1:136
	;; [unrolled: 1-line block ×6, first 2 shown]
	ds_load_2addr_b32 v[71:72], v201 offset1:56
	ds_load_2addr_b32 v[73:74], v160 offset0:192 offset1:248
	ds_load_2addr_b32 v[82:83], v80 offset0:112 offset1:168
	;; [unrolled: 1-line block ×3, first 2 shown]
	v_sub_f16_e32 v86, v13, v38
	v_add_f16_e32 v12, v10, v11
	v_sub_f16_e32 v11, v11, v10
	v_sub_f16_e32 v10, v15, v14
	v_add_f16_e32 v14, v26, v33
	v_add_f16_e32 v15, v38, v35
	v_sub_f16_e32 v75, v12, v26
	v_sub_f16_e32 v87, v21, v11
	;; [unrolled: 1-line block ×3, first 2 shown]
	v_add_f16_e32 v14, v12, v14
	v_add_f16_e32 v15, v13, v15
	v_sub_f16_e32 v26, v26, v33
	s_delay_alu instid0(VALU_DEP_3) | instskip(NEXT) | instid1(VALU_DEP_3)
	v_add_f16_e32 v17, v30, v14
	v_add_f16_e32 v16, v16, v15
	s_delay_alu instid0(VALU_DEP_2) | instskip(SKIP_1) | instid1(VALU_DEP_3)
	v_fmamk_f16 v28, v14, 0xbcab, v17
	v_sub_f16_e32 v14, v33, v12
	v_fmamk_f16 v30, v15, 0xbcab, v16
	v_pack_b32_f16 v44, v17, v16
	v_sub_f16_e32 v12, v35, v13
	v_sub_f16_e32 v15, v11, v36
	;; [unrolled: 1-line block ×3, first 2 shown]
	v_mul_f16_e32 v92, 0x3a52, v14
	v_add_f16_e32 v13, v11, v36
	v_add_f16_e32 v11, v10, v37
	v_mul_f16_e32 v90, 0xb846, v15
	v_mul_f16_e32 v93, 0x3a52, v12
	;; [unrolled: 1-line block ×3, first 2 shown]
	v_fmamk_f16 v10, v75, 0x2b26, v92
	v_add_f16_e32 v89, v13, v21
	v_add_f16_e32 v91, v11, v34
	v_fmamk_f16 v95, v87, 0x3574, v90
	v_fmamk_f16 v99, v88, 0x3574, v94
	v_add_f16_e32 v101, v10, v28
	v_fmamk_f16 v10, v86, 0x2b26, v93
	v_mad_co_u64_u32 v[12:13], null, v109, 24, s[8:9]
	v_fmac_f16_e32 v95, 0x370e, v89
	v_fmac_f16_e32 v99, 0x370e, v91
	s_delay_alu instid0(VALU_DEP_4)
	v_add_f16_e32 v103, v10, v30
	v_sub_f16_e32 v21, v36, v21
	v_sub_f16_e32 v34, v37, v34
	;; [unrolled: 1-line block ×3, first 2 shown]
	v_add_f16_e32 v10, v99, v101
	v_sub_f16_e32 v11, v103, v95
	v_mul_f16_e32 v35, 0x2b26, v75
	v_fma_f16 v36, v21, 0x3b00, -v90
	v_mul_f16_e32 v21, 0x3b00, v21
	v_fma_f16 v37, v34, 0x3b00, -v94
	v_pack_b32_f16 v105, v10, v11
	v_mul_lo_u16 v10, v32, 24
	v_mul_f16_e32 v34, 0x3b00, v34
	v_mul_f16_e32 v38, 0x2b26, v86
	v_fma_f16 v35, v26, 0x39e0, -v35
	v_fma_f16 v26, v26, 0xb9e0, -v92
	v_and_b32_e32 v10, 0xffff, v10
	v_fma_f16 v21, v87, 0xb574, -v21
	v_fma_f16 v34, v88, 0xb574, -v34
	;; [unrolled: 1-line block ×4, first 2 shown]
	v_add_co_u32 v8, s1, s8, v10
	v_mad_co_u64_u32 v[10:11], null, v107, 24, s[8:9]
	s_wait_alu 0xf1ff
	v_add_co_ci_u32_e64 v9, null, s9, 0, s1
	s_clause 0x5
	global_load_b64 v[61:62], v[10:11], off offset:224
	global_load_b128 v[16:19], v[10:11], off offset:208
	global_load_b64 v[59:60], v[12:13], off offset:224
	global_load_b128 v[12:15], v[12:13], off offset:208
	global_load_b64 v[57:58], v[8:9], off offset:224
	global_load_b128 v[8:11], v[8:9], off offset:208
	v_fmac_f16_e32 v21, 0x370e, v89
	v_fmac_f16_e32 v34, 0x370e, v91
	v_add_f16_e32 v35, v35, v28
	v_add_f16_e32 v26, v26, v28
	;; [unrolled: 1-line block ×3, first 2 shown]
	v_fmac_f16_e32 v36, 0x370e, v89
	v_fmac_f16_e32 v37, 0x370e, v91
	v_add_f16_e32 v30, v38, v30
	v_add_f16_e32 v33, v34, v26
	v_sub_f16_e32 v38, v28, v21
	global_wb scope:SCOPE_SE
	s_wait_loadcnt_dscnt 0x0
	s_barrier_signal -1
	s_barrier_wait -1
	global_inv scope:SCOPE_SE
	ds_store_2addr_b32 v96, v44, v105 offset1:56
	v_pack_b32_f16 v33, v33, v38
	v_sub_f16_e32 v38, v35, v37
	v_add_f16_e32 v44, v36, v30
	v_sub_f16_e32 v30, v30, v36
	v_sub_f16_e32 v26, v26, v34
	v_add_f16_e32 v21, v21, v28
	v_lshrrev_b32_e32 v36, 16, v65
	v_pack_b32_f16 v38, v38, v44
	v_mul_f16_e64 v44, v63, v239
	v_lshrrev_b32_e32 v86, 16, v31
	v_pack_b32_f16 v21, v26, v21
	v_and_b32_e32 v32, 0xffff, v32
	ds_store_2addr_b32 v96, v33, v38 offset0:112 offset1:168
	v_add_f16_e32 v33, v37, v35
	v_mul_f16_e64 v35, v46, v237
	v_mul_f16_e64 v37, v65, v236
	v_lshrrev_b32_e32 v38, 16, v63
	v_lshlrev_b32_e32 v243, 2, v32
	v_pack_b32_f16 v28, v33, v30
	v_lshrrev_b32_e32 v33, 16, v25
	v_fmac_f16_e32 v37, v36, v55
	v_mul_f16_e64 v36, v36, v236
	v_fmac_f16_e32 v44, v38, v6
	ds_store_2addr_b32 v77, v28, v21 offset0:96 offset1:152
	v_mul_f16_e64 v34, v33, v235
	v_lshrrev_b32_e32 v21, 16, v27
	v_lshrrev_b32_e32 v28, 16, v29
	v_mul_f16_e64 v38, v38, v239
	v_fma_f16 v36, v65, v55, -v36
	v_fma_f16 v34, v25, v56, -v34
	v_mul_f16_e64 v25, v25, v235
	v_mul_f16_e64 v26, v21, v238
	;; [unrolled: 1-line block ×3, first 2 shown]
	v_fma_f16 v38, v63, v6, -v38
	v_add_nc_u32_e32 v32, 0x1800, v243
	v_fmac_f16_e32 v25, v33, v56
	v_lshrrev_b32_e32 v33, 16, v46
	v_fma_f16 v26, v27, v5, -v26
	v_mul_f16_e64 v27, v27, v238
	v_fma_f16 v30, v29, v7, -v30
	v_mul_f16_e64 v29, v29, v240
	v_fmac_f16_e32 v35, v33, v4
	v_mul_f16_e64 v33, v33, v237
	v_fmac_f16_e32 v27, v21, v5
	v_sub_f16_e32 v21, v101, v99
	v_fmac_f16_e32 v29, v28, v7
	v_add_f16_e32 v28, v95, v103
	v_fma_f16 v33, v46, v4, -v33
	v_add_f16_e32 v63, v26, v36
	v_add_f16_e32 v87, v27, v37
	;; [unrolled: 1-line block ×3, first 2 shown]
	v_pack_b32_f16 v21, v21, v28
	v_add_f16_e32 v46, v33, v34
	v_add_f16_e32 v28, v35, v25
	;; [unrolled: 1-line block ×3, first 2 shown]
	v_sub_f16_e32 v26, v26, v36
	v_sub_f16_e32 v30, v30, v38
	v_add_f16_e32 v75, v63, v46
	v_add_f16_e32 v89, v87, v28
	v_sub_f16_e32 v25, v35, v25
	v_sub_f16_e32 v27, v27, v37
	v_sub_f16_e32 v29, v29, v44
	v_add_f16_e32 v75, v65, v75
	v_add_f16_e32 v89, v88, v89
	v_sub_f16_e32 v35, v65, v63
	v_add_f16_e32 v38, v30, v26
	v_sub_f16_e32 v37, v88, v87
	v_add_f16_e32 v31, v31, v75
	v_add_f16_e32 v86, v86, v89
	v_sub_f16_e32 v44, v30, v26
	v_sub_f16_e32 v36, v87, v28
	;; [unrolled: 1-line block ×3, first 2 shown]
	s_delay_alu instid0(VALU_DEP_4) | instskip(SKIP_2) | instid1(VALU_DEP_4)
	v_pack_b32_f16 v90, v31, v86
	v_fmamk_f16 v31, v75, 0xbcab, v31
	v_mul_f16_e32 v44, 0xb846, v44
	v_mul_f16_e32 v28, 0x3a52, v28
	ds_store_2addr_b32 v160, v21, v90 offset0:80 offset1:136
	v_sub_f16_e32 v21, v33, v34
	v_sub_f16_e32 v34, v46, v65
	;; [unrolled: 1-line block ×4, first 2 shown]
	s_delay_alu instid0(VALU_DEP_4) | instskip(NEXT) | instid1(VALU_DEP_4)
	v_sub_f16_e32 v30, v21, v30
	v_mul_f16_e32 v34, 0x3a52, v34
	v_sub_f16_e32 v26, v26, v21
	v_add_f16_e32 v21, v38, v21
	v_add_f16_e32 v38, v29, v27
	v_sub_f16_e32 v27, v27, v25
	v_fmamk_f16 v75, v35, 0x2b26, v34
	v_mul_f16_e32 v35, 0x2b26, v35
	v_sub_f16_e32 v29, v25, v29
	v_mul_f16_e32 v46, 0xb846, v46
	v_mul_f16_e32 v63, 0x3b00, v26
	;; [unrolled: 1-line block ×3, first 2 shown]
	v_fma_f16 v34, v33, 0xb9e0, -v34
	v_fma_f16 v33, v33, 0x39e0, -v35
	v_mul_f16_e32 v35, 0x2b26, v37
	v_add_f16_e32 v25, v38, v25
	v_fmamk_f16 v38, v89, 0xbcab, v86
	v_fma_f16 v63, v30, 0xb574, -v63
	v_fmamk_f16 v30, v30, 0x3574, v44
	v_fma_f16 v65, v29, 0xb574, -v65
	v_fmamk_f16 v29, v29, 0x3574, v46
	v_fma_f16 v26, v26, 0x3b00, -v44
	v_fma_f16 v27, v27, 0x3b00, -v46
	v_fma_f16 v35, v36, 0x39e0, -v35
	v_fmac_f16_e32 v30, 0x370e, v21
	v_fmac_f16_e32 v29, 0x370e, v25
	;; [unrolled: 1-line block ×5, first 2 shown]
	v_add_f16_e32 v25, v33, v31
	v_fmac_f16_e32 v26, 0x370e, v21
	v_add_f16_e32 v21, v35, v38
	v_add_f16_e32 v75, v75, v31
	v_fmamk_f16 v86, v37, 0x2b26, v28
	v_fma_f16 v28, v36, 0xb9e0, -v28
	v_add_f16_e32 v34, v34, v31
	v_sub_f16_e32 v31, v25, v27
	v_add_f16_e32 v25, v27, v25
	v_add_f16_e32 v27, v26, v21
	v_sub_f16_e32 v21, v21, v26
	v_add_f16_e32 v86, v86, v38
	v_add_f16_e32 v28, v28, v38
	;; [unrolled: 1-line block ×3, first 2 shown]
	v_pack_b32_f16 v26, v31, v27
	v_pack_b32_f16 v21, v25, v21
	v_add_f16_e32 v27, v30, v86
	v_add_f16_e32 v25, v63, v28
	v_sub_f16_e32 v89, v28, v63
	v_sub_f16_e32 v88, v86, v30
	ds_store_2addr_b32 v79, v26, v21 offset0:48 offset1:104
	v_sub_f16_e32 v21, v34, v65
	v_sub_f16_e32 v26, v75, v29
	v_lshrrev_b32_e32 v30, 16, v66
	v_pack_b32_f16 v87, v87, v88
	v_add_f16_e32 v88, v65, v34
	v_pack_b32_f16 v21, v21, v25
	v_pack_b32_f16 v25, v26, v27
	v_lshrrev_b32_e32 v27, 16, v64
	v_lshrrev_b32_e32 v44, 16, v41
	v_pack_b32_f16 v88, v88, v89
	ds_store_2addr_b32 v79, v21, v25 offset0:160 offset1:216
	v_lshrrev_b32_e32 v21, 16, v47
	ds_store_2addr_b32 v160, v87, v88 offset0:192 offset1:248
	v_lshrrev_b32_e32 v249, 16, v62
	v_lshrrev_b32_e32 v252, 16, v16
	;; [unrolled: 1-line block ×6, first 2 shown]
	v_mul_f16_e64 v26, v47, v252
	v_mul_f16_e64 v29, v64, v251
	v_mul_f16_e64 v25, v21, v252
	v_mul_f16_e64 v28, v27, v251
	v_mul_f16_e64 v33, v66, v250
	v_fmac_f16_e32 v26, v21, v16
	v_fmac_f16_e32 v29, v27, v18
	v_lshrrev_b32_e32 v21, 16, v71
	v_mul_f16_e64 v27, v71, v249
	v_fma_f16 v25, v47, v16, -v25
	v_mul_f16_e64 v31, v30, v250
	v_fmac_f16_e32 v33, v30, v61
	v_mul_f16_e64 v34, v67, v255
	v_fmac_f16_e32 v27, v21, v62
	v_mul_f16_e64 v21, v21, v249
	v_fma_f16 v31, v66, v61, -v31
	v_mul_f16_e64 v36, v69, v254
	v_fma_f16 v28, v64, v18, -v28
	v_lshrrev_b32_e32 v101, 16, v13
	v_fma_f16 v21, v71, v62, -v21
	v_lshrrev_b32_e32 v99, 16, v15
	v_lshrrev_b32_e32 v105, 16, v12
	;; [unrolled: 1-line block ×4, first 2 shown]
	v_add_f16_e32 v30, v25, v21
	v_sub_f16_e32 v21, v25, v21
	v_add_f16_e32 v25, v26, v27
	v_sub_f16_e32 v26, v26, v27
	v_lshrrev_b32_e32 v27, 16, v67
	v_lshrrev_b32_e32 v107, 16, v14
	;; [unrolled: 1-line block ×5, first 2 shown]
	v_fmac_f16_e32 v34, v27, v17
	v_mul_f16_e64 v27, v27, v255
	v_lshrrev_b32_e32 v109, 16, v11
	v_lshrrev_b32_e32 v111, 16, v57
	v_lshrrev_b32_e32 v118, 16, v10
	s_delay_alu instid0(VALU_DEP_4) | instskip(NEXT) | instid1(VALU_DEP_1)
	v_fma_f16 v27, v67, v17, -v27
	v_add_f16_e32 v35, v27, v31
	v_sub_f16_e32 v27, v27, v31
	v_add_f16_e32 v31, v34, v33
	v_sub_f16_e32 v33, v34, v33
	v_lshrrev_b32_e32 v34, 16, v69
	s_delay_alu instid0(VALU_DEP_3) | instskip(NEXT) | instid1(VALU_DEP_2)
	v_add_f16_e32 v38, v31, v25
	v_fmac_f16_e32 v36, v34, v19
	v_mul_f16_e64 v34, v34, v254
	s_delay_alu instid0(VALU_DEP_1) | instskip(NEXT) | instid1(VALU_DEP_1)
	v_fma_f16 v34, v69, v19, -v34
	v_add_f16_e32 v37, v28, v34
	v_sub_f16_e32 v28, v34, v28
	v_add_f16_e32 v34, v29, v36
	v_sub_f16_e32 v29, v36, v29
	v_add_f16_e32 v36, v35, v30
	s_delay_alu instid0(VALU_DEP_4) | instskip(NEXT) | instid1(VALU_DEP_4)
	v_add_f16_e32 v47, v28, v27
	v_add_f16_e32 v38, v34, v38
	v_sub_f16_e32 v63, v28, v27
	s_delay_alu instid0(VALU_DEP_4)
	v_add_f16_e32 v36, v37, v36
	v_sub_f16_e32 v28, v21, v28
	v_add_f16_e32 v64, v29, v33
	v_add_f16_e32 v44, v44, v38
	v_sub_f16_e32 v65, v29, v33
	v_add_f16_e32 v41, v41, v36
	v_add_f16_e32 v47, v47, v21
	v_mul_f16_e32 v63, 0xb846, v63
	v_sub_f16_e32 v21, v27, v21
	v_fmamk_f16 v38, v38, 0xbcab, v44
	v_fmamk_f16 v36, v36, 0xbcab, v41
	v_pack_b32_f16 v41, v41, v44
	v_sub_f16_e32 v44, v30, v37
	v_sub_f16_e32 v37, v37, v35
	;; [unrolled: 1-line block ×5, first 2 shown]
	v_add_f16_e32 v64, v64, v26
	v_mul_f16_e32 v65, 0xb846, v65
	v_sub_f16_e32 v26, v33, v26
	v_fma_f16 v33, v21, 0x3b00, -v63
	v_mul_f16_e32 v21, 0x3b00, v21
	v_mul_f16_e32 v44, 0x3a52, v44
	;; [unrolled: 1-line block ×3, first 2 shown]
	v_fmamk_f16 v66, v28, 0x3574, v63
	v_sub_f16_e32 v30, v35, v30
	v_sub_f16_e32 v25, v31, v25
	v_mul_f16_e32 v27, 0x2b26, v37
	v_mul_f16_e32 v31, 0x2b26, v34
	v_fma_f16 v21, v28, 0xb574, -v21
	v_fma_f16 v28, v26, 0x3b00, -v65
	v_mul_f16_e32 v26, 0x3b00, v26
	v_fma_f16 v27, v30, 0x39e0, -v27
	v_fma_f16 v30, v30, 0xb9e0, -v44
	v_fma_f16 v31, v25, 0x39e0, -v31
	v_fma_f16 v25, v25, 0xb9e0, -v46
	v_fma_f16 v26, v29, 0xb574, -v26
	v_fmamk_f16 v69, v29, 0x3574, v65
	v_add_f16_e32 v29, v30, v36
	v_fmac_f16_e32 v21, 0x370e, v47
	v_add_f16_e32 v25, v25, v38
	v_fmac_f16_e32 v26, 0x370e, v64
	v_fmamk_f16 v71, v34, 0x2b26, v46
	v_add_f16_e32 v27, v27, v36
	v_add_f16_e32 v30, v31, v38
	v_fmac_f16_e32 v33, 0x370e, v47
	v_fmac_f16_e32 v28, 0x370e, v64
	v_add_f16_e32 v31, v26, v29
	v_sub_f16_e32 v34, v25, v21
	v_fmamk_f16 v67, v37, 0x2b26, v44
	v_sub_f16_e32 v26, v29, v26
	v_add_f16_e32 v21, v21, v25
	v_fmac_f16_e32 v66, 0x370e, v47
	v_pack_b32_f16 v31, v31, v34
	v_sub_f16_e32 v34, v27, v28
	v_add_f16_e32 v27, v28, v27
	v_sub_f16_e32 v28, v30, v33
	v_add_f16_e32 v67, v67, v36
	v_fmac_f16_e32 v69, 0x370e, v64
	v_add_f16_e32 v71, v71, v38
	v_pack_b32_f16 v21, v26, v21
	v_pack_b32_f16 v25, v27, v28
	v_add_nc_u32_e32 v26, 0xe00, v241
	v_add_f16_e32 v75, v69, v67
	v_sub_f16_e32 v86, v71, v66
	v_add_f16_e32 v35, v33, v30
	v_lshrrev_b32_e32 v27, 16, v70
	ds_store_2addr_b32 v26, v25, v21 offset0:112 offset1:168
	v_lshrrev_b32_e32 v21, 16, v68
	v_mul_f16_e32 v26, v68, v101
	v_mul_f16_e32 v29, v70, v99
	v_pack_b32_f16 v75, v75, v86
	v_add_nc_u32_e32 v86, 0xc00, v241
	v_pack_b32_f16 v34, v34, v35
	v_mul_f16_e32 v25, v21, v101
	v_mul_f16_e32 v28, v27, v99
	v_lshrrev_b32_e32 v30, 16, v72
	v_fmac_f16_e32 v26, v21, v13
	v_fmac_f16_e32 v29, v27, v15
	v_lshrrev_b32_e32 v21, 16, v73
	v_mul_f16_e32 v27, v73, v105
	ds_store_2addr_b32 v86, v31, v34 offset0:128 offset1:184
	v_mul_f16_e64 v31, v30, v180
	v_mul_f16_e64 v33, v72, v180
	v_mul_f16_e32 v34, v84, v103
	v_fmac_f16_e32 v27, v21, v12
	v_mul_f16_e32 v21, v21, v105
	v_fma_f16 v31, v72, v60, -v31
	v_fmac_f16_e32 v33, v30, v60
	v_fma_f16 v25, v68, v13, -v25
	v_mul_f16_e32 v36, v82, v107
	v_fma_f16 v21, v73, v12, -v21
	v_fma_f16 v28, v70, v15, -v28
	ds_store_2addr_b32 v86, v41, v75 offset0:16 offset1:72
	v_lshrrev_b32_e32 v38, 16, v42
	v_add_f16_e32 v30, v21, v31
	v_sub_f16_e32 v21, v21, v31
	v_add_f16_e32 v31, v27, v33
	v_sub_f16_e32 v27, v27, v33
	v_lshrrev_b32_e32 v33, 16, v84
	s_delay_alu instid0(VALU_DEP_1) | instskip(SKIP_1) | instid1(VALU_DEP_1)
	v_fmac_f16_e32 v34, v33, v59
	v_mul_f16_e32 v33, v33, v103
	v_fma_f16 v33, v84, v59, -v33
	s_delay_alu instid0(VALU_DEP_1) | instskip(SKIP_4) | instid1(VALU_DEP_1)
	v_add_f16_e32 v35, v25, v33
	v_sub_f16_e32 v25, v25, v33
	v_add_f16_e32 v33, v26, v34
	v_sub_f16_e32 v26, v26, v34
	v_lshrrev_b32_e32 v34, 16, v82
	v_fmac_f16_e32 v36, v34, v14
	v_mul_f16_e32 v34, v34, v107
	s_delay_alu instid0(VALU_DEP_1) | instskip(NEXT) | instid1(VALU_DEP_1)
	v_fma_f16 v34, v82, v14, -v34
	v_add_f16_e32 v37, v34, v28
	v_sub_f16_e32 v28, v28, v34
	v_add_f16_e32 v34, v36, v29
	v_sub_f16_e32 v29, v29, v36
	v_add_f16_e32 v36, v35, v30
	s_delay_alu instid0(VALU_DEP_4) | instskip(SKIP_2) | instid1(VALU_DEP_4)
	v_add_f16_e32 v46, v28, v25
	v_sub_f16_e32 v47, v28, v25
	v_sub_f16_e32 v28, v21, v28
	v_add_f16_e32 v36, v37, v36
	v_sub_f16_e32 v64, v29, v26
	v_add_f16_e32 v46, v46, v21
	v_mul_f16_e32 v47, 0xb846, v47
	v_sub_f16_e32 v21, v25, v21
	v_add_f16_e32 v41, v42, v36
	v_add_f16_e32 v42, v33, v31
	v_sub_f16_e32 v44, v31, v34
	v_add_f16_e32 v63, v29, v26
	v_mul_f16_e32 v64, 0xb846, v64
	v_fmamk_f16 v36, v36, 0xbcab, v41
	v_add_f16_e32 v42, v34, v42
	v_sub_f16_e32 v34, v34, v33
	v_sub_f16_e32 v31, v33, v31
	;; [unrolled: 1-line block ×3, first 2 shown]
	v_fma_f16 v33, v21, 0x3b00, -v47
	v_add_f16_e32 v38, v38, v42
	v_mul_f16_e32 v21, 0x3b00, v21
	v_sub_f16_e32 v29, v27, v29
	v_add_f16_e32 v63, v63, v27
	v_mul_f16_e32 v44, 0x3a52, v44
	v_fmamk_f16 v42, v42, 0xbcab, v38
	v_pack_b32_f16 v38, v41, v38
	v_sub_f16_e32 v41, v30, v37
	v_sub_f16_e32 v37, v37, v35
	;; [unrolled: 1-line block ×3, first 2 shown]
	v_fmamk_f16 v72, v28, 0x3574, v47
	v_fma_f16 v21, v28, 0xb574, -v21
	v_mul_f16_e32 v41, 0x3a52, v41
	v_mul_f16_e32 v26, 0x2b26, v37
	v_fma_f16 v28, v25, 0x3b00, -v64
	v_mul_f16_e32 v25, 0x3b00, v25
	v_fmamk_f16 v70, v29, 0x3574, v64
	v_fma_f16 v27, v30, 0xb9e0, -v41
	v_fma_f16 v26, v30, 0x39e0, -v26
	v_mul_f16_e32 v30, 0x2b26, v34
	v_fma_f16 v25, v29, 0xb574, -v25
	v_fmac_f16_e32 v21, 0x370e, v46
	v_add_f16_e32 v27, v27, v36
	v_fmamk_f16 v68, v34, 0x2b26, v44
	v_fma_f16 v30, v31, 0x39e0, -v30
	v_fma_f16 v31, v31, 0xb9e0, -v44
	v_fmac_f16_e32 v25, 0x370e, v63
	v_add_f16_e32 v26, v26, v36
	v_fmac_f16_e32 v33, 0x370e, v46
	v_add_f16_e32 v29, v30, v42
	v_add_f16_e32 v30, v31, v42
	v_fmac_f16_e32 v28, 0x370e, v63
	v_add_f16_e32 v31, v25, v27
	v_sub_f16_e32 v25, v27, v25
	v_add_f16_e32 v35, v33, v29
	v_sub_f16_e32 v34, v30, v21
	v_add_f16_e32 v21, v21, v30
	v_lshrrev_b32_e32 v27, 16, v23
	v_fmamk_f16 v65, v37, 0x2b26, v41
	v_mul_f16_e32 v37, v85, v111
	v_pack_b32_f16 v31, v31, v34
	v_sub_f16_e32 v34, v26, v28
	v_add_f16_e32 v26, v28, v26
	v_sub_f16_e32 v28, v29, v33
	v_pack_b32_f16 v21, v25, v21
	v_lshrrev_b32_e32 v33, 16, v22
	v_pack_b32_f16 v34, v34, v35
	v_add_nc_u32_e32 v35, 0x1400, v242
	v_pack_b32_f16 v26, v26, v28
	v_mul_f16_e32 v28, v27, v115
	v_add_f16_e32 v65, v65, v36
	v_lshrrev_b32_e32 v29, 16, v83
	ds_store_2addr_b32 v35, v31, v34 offset0:8 offset1:64
	ds_store_2addr_b32 v35, v26, v21 offset0:120 offset1:176
	v_lshrrev_b32_e32 v21, 16, v74
	v_mul_f16_e32 v26, v74, v119
	v_fma_f16 v28, v23, v9, -v28
	v_mul_f16_e32 v23, v23, v115
	v_lshrrev_b32_e32 v35, 16, v85
	v_mul_f16_e32 v25, v21, v119
	v_fmac_f16_e32 v26, v21, v8
	v_lshrrev_b32_e32 v21, 16, v24
	v_fmac_f16_e32 v23, v27, v9
	v_mul_f16_e32 v34, v33, v109
	v_mul_f16_e32 v36, v35, v111
	v_fma_f16 v25, v74, v8, -v25
	v_mul_f16_e32 v27, v21, v113
	v_mul_f16_e32 v30, v29, v118
	;; [unrolled: 1-line block ×3, first 2 shown]
	v_fma_f16 v34, v22, v11, -v34
	v_mul_f16_e32 v22, v22, v109
	v_fma_f16 v27, v24, v58, -v27
	v_mul_f16_e32 v24, v24, v113
	v_fma_f16 v36, v85, v57, -v36
	v_fmac_f16_e32 v37, v35, v57
	v_fma_f16 v30, v83, v10, -v30
	v_fmac_f16_e32 v31, v29, v10
	v_fmac_f16_e32 v24, v21, v58
	v_fmac_f16_e32 v22, v33, v11
	v_add_f16_e32 v21, v25, v27
	v_sub_f16_e32 v25, v25, v27
	v_add_f16_e32 v29, v23, v37
	v_add_f16_e32 v27, v26, v24
	v_sub_f16_e32 v24, v26, v24
	v_add_f16_e32 v26, v28, v36
	v_sub_f16_e32 v28, v28, v36
	;; [unrolled: 2-line block ×4, first 2 shown]
	v_add_f16_e32 v31, v26, v21
	v_add_f16_e32 v36, v29, v27
	;; [unrolled: 1-line block ×3, first 2 shown]
	v_fmac_f16_e32 v70, 0x370e, v63
	v_fmac_f16_e32 v72, 0x370e, v46
	v_add_f16_e32 v31, v33, v31
	v_lshrrev_b32_e32 v35, 16, v20
	v_add_f16_e32 v36, v34, v36
	v_add_f16_e32 v73, v70, v65
	v_sub_f16_e32 v75, v68, v72
	v_sub_f16_e32 v23, v23, v37
	v_add_f16_e32 v20, v20, v31
	v_add_f16_e32 v35, v35, v36
	v_sub_f16_e32 v37, v27, v34
	v_pack_b32_f16 v73, v73, v75
	v_add_nc_u32_e32 v75, 0x1000, v242
	v_fmamk_f16 v31, v31, 0xbcab, v20
	v_fmamk_f16 v36, v36, 0xbcab, v35
	v_pack_b32_f16 v20, v20, v35
	v_sub_f16_e32 v35, v21, v33
	v_sub_f16_e32 v41, v30, v28
	;; [unrolled: 1-line block ×3, first 2 shown]
	ds_store_2addr_b32 v75, v38, v73 offset0:152 offset1:208
	v_sub_f16_e32 v33, v33, v26
	v_sub_f16_e32 v34, v34, v29
	v_add_f16_e32 v38, v30, v28
	v_sub_f16_e32 v30, v25, v30
	v_add_f16_e32 v42, v22, v23
	v_sub_f16_e32 v22, v24, v22
	v_mul_f16_e32 v35, 0x3a52, v35
	v_mul_f16_e32 v37, 0x3a52, v37
	;; [unrolled: 1-line block ×4, first 2 shown]
	v_add_f16_e32 v38, v38, v25
	v_add_f16_e32 v42, v42, v24
	v_fmamk_f16 v46, v33, 0x2b26, v35
	v_fmamk_f16 v47, v34, 0x2b26, v37
	;; [unrolled: 1-line block ×4, first 2 shown]
	v_sub_f16_e32 v25, v28, v25
	v_add_f16_e32 v46, v46, v31
	v_add_f16_e32 v47, v47, v36
	v_fmac_f16_e32 v63, 0x370e, v42
	v_fmac_f16_e32 v64, 0x370e, v38
	v_sub_f16_e32 v23, v23, v24
	v_mul_f16_e32 v24, 0x2b26, v33
	s_delay_alu instid0(VALU_DEP_4) | instskip(NEXT) | instid1(VALU_DEP_4)
	v_add_f16_e32 v73, v63, v46
	v_sub_f16_e32 v74, v47, v64
	s_delay_alu instid0(VALU_DEP_4) | instskip(SKIP_1) | instid1(VALU_DEP_3)
	v_fma_f16 v28, v23, 0x3b00, -v44
	v_mul_f16_e32 v23, 0x3b00, v23
	v_pack_b32_f16 v73, v73, v74
	s_delay_alu instid0(VALU_DEP_3) | instskip(NEXT) | instid1(VALU_DEP_3)
	v_fmac_f16_e32 v28, 0x370e, v42
	v_fma_f16 v22, v22, 0xb574, -v23
	ds_store_2addr_b32 v32, v20, v73 offset0:32 offset1:88
	v_sub_f16_e32 v20, v26, v21
	v_sub_f16_e32 v21, v29, v27
	v_mul_f16_e32 v26, 0x2b26, v34
	v_fma_f16 v27, v25, 0x3b00, -v41
	v_mul_f16_e32 v25, 0x3b00, v25
	v_fma_f16 v24, v20, 0x39e0, -v24
	v_fma_f16 v20, v20, 0xb9e0, -v35
	;; [unrolled: 1-line block ×5, first 2 shown]
	v_fmac_f16_e32 v22, 0x370e, v42
	v_add_f16_e32 v20, v20, v31
	v_add_f16_e32 v23, v24, v31
	;; [unrolled: 1-line block ×3, first 2 shown]
	v_fmac_f16_e32 v25, 0x370e, v38
	v_add_f16_e32 v24, v26, v36
	v_fmac_f16_e32 v27, 0x370e, v38
	v_add_f16_e32 v26, v22, v20
	v_sub_f16_e32 v20, v20, v22
	v_sub_f16_e32 v29, v21, v25
	v_add_f16_e32 v21, v25, v21
	v_add_f16_e32 v30, v27, v24
	v_sub_f16_e32 v24, v24, v27
	v_add_f16_e32 v25, v64, v47
	v_pack_b32_f16 v26, v26, v29
	v_sub_f16_e32 v29, v23, v28
	v_add_f16_e32 v23, v28, v23
	v_pack_b32_f16 v20, v20, v21
	v_add_nc_u32_e32 v21, 0x1c00, v243
	s_delay_alu instid0(VALU_DEP_4) | instskip(NEXT) | instid1(VALU_DEP_4)
	v_pack_b32_f16 v29, v29, v30
	v_pack_b32_f16 v22, v23, v24
	v_add_f16_e32 v23, v72, v68
	v_sub_f16_e32 v24, v46, v63
	ds_store_2addr_b32 v32, v26, v29 offset0:144 offset1:200
	ds_store_2addr_b32 v21, v22, v20 offset1:56
	v_sub_f16_e32 v20, v67, v69
	v_add_f16_e32 v21, v66, v71
	v_sub_f16_e32 v22, v65, v70
	s_delay_alu instid0(VALU_DEP_2) | instskip(NEXT) | instid1(VALU_DEP_2)
	v_pack_b32_f16 v20, v20, v21
	v_pack_b32_f16 v21, v22, v23
	;; [unrolled: 1-line block ×3, first 2 shown]
	ds_store_b32 v241, v20 offset:4480
	ds_store_b32 v242, v21 offset:6048
	;; [unrolled: 1-line block ×3, first 2 shown]
	v_lshlrev_b32_e32 v20, 2, v76
	v_lshlrev_b32_e32 v24, 2, v43
	global_wb scope:SCOPE_SE
	s_wait_dscnt 0x0
	s_barrier_signal -1
	s_barrier_wait -1
	global_inv scope:SCOPE_SE
	ds_load_2addr_b32 v[28:29], v157 offset0:16 offset1:72
	s_clause 0x1
	global_load_b128 v[20:23], v20, s[8:9] offset:1552
	global_load_b128 v[24:27], v24, s[8:9] offset:1552
	s_wait_dscnt 0x0
	v_lshrrev_b32_e32 v34, 16, v28
	v_lshrrev_b32_e32 v35, 16, v29
	s_wait_loadcnt 0x1
	v_lshrrev_b32_e32 v246, 16, v21
	s_wait_loadcnt 0x0
	v_lshrrev_b32_e32 v244, 16, v25
	v_lshrrev_b32_e32 v247, 16, v23
	;; [unrolled: 1-line block ×4, first 2 shown]
	v_mul_f16_e64 v30, v34, v246
	v_mul_f16_e64 v31, v35, v244
	;; [unrolled: 1-line block ×3, first 2 shown]
	v_lshrrev_b32_e32 v253, 16, v24
	v_lshrrev_b32_e32 v123, 16, v20
	v_fma_f16 v30, v28, v21, -v30
	v_fma_f16 v42, v29, v25, -v31
	v_mul_f16_e64 v31, v28, v246
	ds_load_2addr_b32 v[28:29], v78 offset0:32 offset1:88
	v_fmac_f16_e32 v41, v35, v25
	v_lshrrev_b32_e32 v121, 16, v22
	v_fmac_f16_e32 v31, v34, v21
	s_wait_dscnt 0x0
	v_lshrrev_b32_e32 v36, 16, v28
	v_lshrrev_b32_e32 v37, 16, v29
	v_mul_f16_e64 v46, v29, v245
	s_delay_alu instid0(VALU_DEP_3) | instskip(NEXT) | instid1(VALU_DEP_2)
	v_mul_f16_e64 v32, v36, v247
	v_fmac_f16_e32 v46, v37, v27
	s_delay_alu instid0(VALU_DEP_2) | instskip(SKIP_4) | instid1(VALU_DEP_1)
	v_fma_f16 v33, v28, v23, -v32
	v_mul_f16_e64 v32, v37, v245
	ds_load_2addr_b32 v[37:38], v160 offset0:192 offset1:248
	v_fma_f16 v47, v29, v27, -v32
	v_mul_f16_e64 v32, v28, v247
	v_fmac_f16_e32 v32, v36, v23
	ds_load_2addr_b32 v[35:36], v81 offset0:80 offset1:136
	s_wait_dscnt 0x1
	v_lshrrev_b32_e32 v29, 16, v37
	v_mul_f16_e64 v83, v37, v253
	s_delay_alu instid0(VALU_DEP_1) | instskip(SKIP_4) | instid1(VALU_DEP_3)
	v_fmac_f16_e32 v83, v29, v24
	v_mul_f16_e64 v29, v29, v253
	s_wait_dscnt 0x0
	v_lshrrev_b32_e32 v28, 16, v35
	v_mul_f16_e64 v82, v35, v248
	v_fma_f16 v37, v37, v24, -v29
	v_sub_f16_e32 v92, v83, v46
	v_lshrrev_b32_e32 v134, 16, v36
	s_delay_alu instid0(VALU_DEP_4) | instskip(SKIP_2) | instid1(VALU_DEP_3)
	v_fmac_f16_e32 v82, v28, v26
	v_mul_f16_e64 v28, v28, v248
	v_sub_f16_e32 v93, v37, v47
	v_sub_f16_e32 v63, v82, v46
	s_delay_alu instid0(VALU_DEP_3)
	v_fma_f16 v84, v35, v26, -v28
	ds_load_2addr_b32 v[28:29], v96 offset1:56
	v_add_f16_e32 v35, v37, v47
	v_sub_f16_e32 v91, v41, v82
	v_add_f16_e32 v34, v42, v84
	v_sub_f16_e32 v44, v84, v47
	v_sub_f16_e32 v90, v42, v84
	s_wait_dscnt 0x0
	s_delay_alu instid0(VALU_DEP_3)
	v_fma_f16 v85, -0.5, v34, v29
	v_lshrrev_b32_e32 v43, 16, v29
	v_add_f16_e32 v34, v29, v37
	v_fmac_f16_e32 v29, -0.5, v35
	v_sub_f16_e32 v35, v42, v37
	v_sub_f16_e32 v37, v37, v42
	s_delay_alu instid0(VALU_DEP_2) | instskip(SKIP_2) | instid1(VALU_DEP_2)
	v_add_f16_e32 v87, v35, v44
	v_add_f16_e32 v35, v41, v82
	;; [unrolled: 1-line block ×3, first 2 shown]
	v_fma_f16 v86, -0.5, v35, v43
	v_add_f16_e32 v35, v43, v83
	s_delay_alu instid0(VALU_DEP_3) | instskip(SKIP_1) | instid1(VALU_DEP_2)
	v_fmac_f16_e32 v43, -0.5, v44
	v_sub_f16_e32 v44, v41, v83
	v_fmamk_f16 v89, v90, 0x3b9c, v43
	s_delay_alu instid0(VALU_DEP_2) | instskip(SKIP_3) | instid1(VALU_DEP_2)
	v_add_f16_e32 v88, v44, v63
	ds_load_2addr_b32 v[63:64], v160 offset0:80 offset1:136
	v_fmac_f16_e32 v43, 0xbb9c, v90
	v_fmac_f16_e32 v89, 0xb8b4, v93
	;; [unrolled: 1-line block ×3, first 2 shown]
	s_delay_alu instid0(VALU_DEP_2) | instskip(NEXT) | instid1(VALU_DEP_2)
	v_fmac_f16_e32 v89, 0x34f2, v88
	v_fmac_f16_e32 v43, 0x34f2, v88
	s_wait_dscnt 0x0
	v_lshrrev_b32_e32 v65, 16, v64
	v_mul_f16_e32 v44, v64, v123
	s_delay_alu instid0(VALU_DEP_2) | instskip(NEXT) | instid1(VALU_DEP_2)
	v_mul_f16_e32 v68, v65, v123
	v_fmac_f16_e32 v44, v65, v20
	ds_load_2addr_b32 v[65:66], v159 offset0:96 offset1:152
	s_wait_dscnt 0x0
	v_lshrrev_b32_e32 v69, 16, v66
	v_mul_f16_e32 v67, v66, v121
	s_delay_alu instid0(VALU_DEP_2) | instskip(NEXT) | instid1(VALU_DEP_2)
	v_mul_f16_e32 v70, v69, v121
	v_fmac_f16_e32 v67, v69, v22
	v_fma_f16 v69, v64, v20, -v68
	v_fmamk_f16 v64, v91, 0xbb9c, v29
	v_fmac_f16_e32 v29, 0x3b9c, v91
	v_fma_f16 v66, v66, v22, -v70
	v_sub_f16_e32 v74, v31, v67
	v_add_f16_e32 v70, v69, v33
	v_fmac_f16_e32 v64, 0x38b4, v92
	v_fmac_f16_e32 v29, 0xb8b4, v92
	v_sub_f16_e32 v71, v33, v66
	v_add_f16_e32 v68, v30, v66
	v_sub_f16_e32 v72, v66, v33
	v_fma_f16 v70, -0.5, v70, v28
	v_fmac_f16_e32 v29, 0x34f2, v87
	v_fmac_f16_e32 v64, 0x34f2, v87
	v_fma_f16 v68, -0.5, v68, v28
	s_delay_alu instid0(VALU_DEP_4) | instskip(NEXT) | instid1(VALU_DEP_4)
	v_fmamk_f16 v75, v74, 0xbb9c, v70
	v_pack_b32_f16 v95, v29, v43
	v_sub_f16_e32 v43, v69, v30
	v_lshrrev_b32_e32 v29, 16, v28
	v_add_f16_e32 v28, v28, v69
	v_fmac_f16_e32 v70, 0x3b9c, v74
	v_pack_b32_f16 v64, v64, v89
	v_add_f16_e32 v43, v43, v71
	v_sub_f16_e32 v71, v30, v69
	v_add_f16_e32 v28, v28, v30
	v_sub_f16_e32 v30, v30, v66
	s_delay_alu instid0(VALU_DEP_3) | instskip(SKIP_1) | instid1(VALU_DEP_4)
	v_add_f16_e32 v71, v71, v72
	v_sub_f16_e32 v72, v44, v32
	v_add_f16_e32 v28, v28, v66
	v_add_f16_e32 v66, v44, v32
	s_delay_alu instid0(VALU_DEP_3) | instskip(SKIP_1) | instid1(VALU_DEP_4)
	v_fmamk_f16 v73, v72, 0x3b9c, v68
	v_fmac_f16_e32 v68, 0xbb9c, v72
	v_add_f16_e32 v28, v28, v33
	v_sub_f16_e32 v33, v69, v33
	v_add_f16_e32 v69, v29, v44
	v_fmac_f16_e32 v73, 0x38b4, v74
	v_fmac_f16_e32 v68, 0xb8b4, v74
	v_fmac_f16_e32 v75, 0x38b4, v72
	v_fmac_f16_e32 v70, 0xb8b4, v72
	s_delay_alu instid0(VALU_DEP_4) | instskip(NEXT) | instid1(VALU_DEP_4)
	v_fmac_f16_e32 v73, 0x34f2, v43
	v_fmac_f16_e32 v68, 0x34f2, v43
	v_add_f16_e32 v43, v31, v67
	v_fmac_f16_e32 v75, 0x34f2, v71
	v_fmac_f16_e32 v70, 0x34f2, v71
	s_delay_alu instid0(VALU_DEP_3) | instskip(SKIP_4) | instid1(VALU_DEP_3)
	v_fma_f16 v43, -0.5, v43, v29
	v_fmac_f16_e32 v29, -0.5, v66
	v_add_f16_e32 v66, v69, v31
	v_sub_f16_e32 v69, v44, v31
	v_sub_f16_e32 v31, v31, v44
	v_add_f16_e32 v44, v66, v67
	v_sub_f16_e32 v66, v32, v67
	v_sub_f16_e32 v67, v67, v32
	s_delay_alu instid0(VALU_DEP_3) | instskip(NEXT) | instid1(VALU_DEP_3)
	v_add_f16_e32 v32, v44, v32
	v_add_f16_e32 v44, v69, v66
	v_fmamk_f16 v66, v30, 0x3b9c, v29
	v_fmac_f16_e32 v29, 0xbb9c, v30
	v_add_f16_e32 v31, v31, v67
	v_fmamk_f16 v67, v33, 0xbb9c, v43
	v_fmac_f16_e32 v43, 0x3b9c, v33
	v_fmac_f16_e32 v66, 0xb8b4, v33
	v_fmac_f16_e32 v29, 0x38b4, v33
	v_add_f16_e32 v33, v34, v42
	v_add_f16_e32 v34, v35, v41
	v_fmac_f16_e32 v67, 0xb8b4, v30
	v_fmac_f16_e32 v43, 0x38b4, v30
	v_fmac_f16_e32 v66, 0x34f2, v31
	v_add_f16_e32 v33, v33, v84
	v_add_f16_e32 v34, v34, v82
	;; [unrolled: 5-line block ×3, first 2 shown]
	v_pack_b32_f16 v30, v73, v67
	v_pack_b32_f16 v31, v75, v66
	;; [unrolled: 1-line block ×6, first 2 shown]
	ds_store_b32 v96, v30 offset:1568
	ds_load_2addr_b32 v[151:152], v96 offset0:112 offset1:168
	ds_load_2addr_b32 v[142:143], v157 offset0:128 offset1:184
	;; [unrolled: 1-line block ×7, first 2 shown]
	ds_load_2addr_b32 v[72:73], v201 offset1:56
	ds_load_2addr_b32 v[68:69], v79 offset0:160 offset1:216
	ds_load_2addr_b32 v[66:67], v184 offset0:176 offset1:232
	ds_store_b32 v96, v31 offset:3136
	ds_store_b32 v96, v29 offset:4704
	;; [unrolled: 1-line block ×3, first 2 shown]
	ds_load_b32 v94, v96 offset:7616
	ds_store_2addr_b32 v96, v28, v33 offset1:56
	v_lshlrev_b32_e32 v28, 2, v40
	v_lshlrev_b32_e32 v29, 2, v39
	s_clause 0x1
	global_load_b128 v[32:35], v28, s[8:9] offset:1552
	global_load_b128 v[28:31], v29, s[8:9] offset:1552
	v_lshrrev_b32_e32 v39, 16, v38
	v_sub_f16_e32 v42, v47, v84
	s_wait_dscnt 0xe
	v_lshrrev_b32_e32 v88, 16, v151
	s_delay_alu instid0(VALU_DEP_2) | instskip(SKIP_4) | instid1(VALU_DEP_3)
	v_add_f16_e32 v37, v37, v42
	v_fmamk_f16 v42, v92, 0x3b9c, v85
	v_fmac_f16_e32 v85, 0xbb9c, v92
	s_wait_dscnt 0x7
	v_lshrrev_b32_e32 v175, 16, v73
	v_fmac_f16_e32 v42, 0x38b4, v91
	s_delay_alu instid0(VALU_DEP_3) | instskip(NEXT) | instid1(VALU_DEP_2)
	v_fmac_f16_e32 v85, 0xb8b4, v91
	v_fmac_f16_e32 v42, 0x34f2, v37
	s_delay_alu instid0(VALU_DEP_2)
	v_fmac_f16_e32 v85, 0x34f2, v37
	v_lshrrev_b32_e32 v37, 16, v142
	s_wait_loadcnt 0x1
	v_lshrrev_b32_e32 v131, 16, v32
	v_lshrrev_b32_e32 v129, 16, v34
	s_wait_loadcnt 0x0
	v_lshrrev_b32_e32 v140, 16, v29
	v_lshrrev_b32_e32 v137, 16, v31
	v_mul_f16_e64 v40, v39, v131
	v_mul_f16_e64 v135, v134, v129
	s_delay_alu instid0(VALU_DEP_2) | instskip(SKIP_1) | instid1(VALU_DEP_3)
	v_fma_f16 v40, v38, v32, -v40
	v_mul_f16_e64 v38, v38, v131
	v_fma_f16 v145, v36, v34, -v135
	v_mul_f16_e64 v36, v36, v129
	v_lshrrev_b32_e32 v135, 16, v33
	s_delay_alu instid0(VALU_DEP_4)
	v_fmac_f16_e32 v38, v39, v32
	v_sub_f16_e32 v39, v83, v41
	v_sub_f16_e32 v41, v46, v82
	v_fmac_f16_e64 v36, v134, v34
	v_lshrrev_b32_e32 v134, 16, v35
	v_lshrrev_b32_e32 v46, 16, v181
	s_delay_alu instid0(VALU_DEP_4) | instskip(SKIP_4) | instid1(VALU_DEP_4)
	v_add_f16_e32 v39, v39, v41
	v_fmamk_f16 v41, v93, 0xbb9c, v86
	v_fmac_f16_e32 v86, 0x3b9c, v93
	v_mul_f16_e64 v47, v181, v134
	v_mul_f16_e64 v93, v182, v137
	v_fmac_f16_e32 v41, 0xb8b4, v90
	s_delay_alu instid0(VALU_DEP_4) | instskip(NEXT) | instid1(VALU_DEP_4)
	v_fmac_f16_e32 v86, 0x38b4, v90
	v_fmac_f16_e32 v47, v46, v35
	v_mul_f16_e64 v46, v46, v134
	s_delay_alu instid0(VALU_DEP_4) | instskip(NEXT) | instid1(VALU_DEP_4)
	v_fmac_f16_e32 v41, 0x34f2, v39
	v_fmac_f16_e32 v86, 0x34f2, v39
	v_mul_f16_e64 v39, v142, v135
	s_delay_alu instid0(VALU_DEP_4) | instskip(SKIP_2) | instid1(VALU_DEP_4)
	v_fma_f16 v46, v181, v35, -v46
	v_sub_f16_e32 v84, v47, v36
	v_pack_b32_f16 v41, v42, v41
	v_fmac_f16_e32 v39, v37, v33
	v_mul_f16_e64 v37, v37, v135
	v_sub_f16_e64 v83, v46, v145
	v_sub_f16_e32 v90, v40, v46
	s_delay_alu instid0(VALU_DEP_4) | instskip(NEXT) | instid1(VALU_DEP_4)
	v_add_f16_e32 v89, v39, v36
	v_fma_f16 v37, v142, v33, -v37
	v_sub_f16_e32 v87, v39, v36
	v_lshrrev_b32_e32 v142, 16, v30
	s_delay_alu instid0(VALU_DEP_4) | instskip(NEXT) | instid1(VALU_DEP_4)
	v_fma_f16 v89, -0.5, v89, v88
	v_sub_f16_e32 v82, v40, v37
	v_add_f16_e64 v42, v37, v145
	v_sub_f16_e64 v92, v37, v145
	s_delay_alu instid0(VALU_DEP_4) | instskip(NEXT) | instid1(VALU_DEP_4)
	v_fmamk_f16 v91, v90, 0xbb9c, v89
	v_add_f16_e32 v82, v82, v83
	v_sub_f16_e32 v83, v38, v39
	v_fma_f16 v42, -0.5, v42, v151
	v_fmac_f16_e32 v89, 0x3b9c, v90
	v_fmac_f16_e32 v91, 0xb8b4, v92
	s_delay_alu instid0(VALU_DEP_4) | instskip(SKIP_3) | instid1(VALU_DEP_4)
	v_add_f16_e32 v83, v83, v84
	v_pack_b32_f16 v84, v85, v86
	v_sub_f16_e32 v85, v38, v47
	v_fmac_f16_e32 v89, 0x38b4, v92
	v_fmac_f16_e32 v91, 0x34f2, v83
	s_delay_alu instid0(VALU_DEP_3) | instskip(SKIP_1) | instid1(VALU_DEP_4)
	v_fmamk_f16 v86, v85, 0x3b9c, v42
	v_fmac_f16_e32 v42, 0xbb9c, v85
	v_fmac_f16_e32 v89, 0x34f2, v83
	v_mul_f16_e64 v83, v43, v142
	s_delay_alu instid0(VALU_DEP_4) | instskip(NEXT) | instid1(VALU_DEP_4)
	v_fmac_f16_e32 v86, 0x38b4, v87
	v_fmac_f16_e32 v42, 0xb8b4, v87
	s_delay_alu instid0(VALU_DEP_2) | instskip(NEXT) | instid1(VALU_DEP_2)
	v_fmac_f16_e32 v86, 0x34f2, v82
	v_fmac_f16_e32 v42, 0x34f2, v82
	v_add_f16_e32 v82, v38, v47
	s_delay_alu instid0(VALU_DEP_3)
	v_pack_b32_f16 v86, v86, v91
	ds_store_b32 v96, v64 offset:3360
	ds_store_b32 v96, v95 offset:4928
	;; [unrolled: 1-line block ×3, first 2 shown]
	ds_store_2addr_b32 v160, v41, v86 offset0:192 offset1:248
	v_lshrrev_b32_e32 v41, 16, v143
	v_mul_f16_e64 v84, v143, v140
	v_lshrrev_b32_e32 v86, 16, v182
	s_delay_alu instid0(VALU_DEP_3) | instskip(NEXT) | instid1(VALU_DEP_3)
	v_mul_f16_e64 v64, v41, v140
	v_fmac_f16_e32 v84, v41, v29
	v_add_f16_e64 v41, v151, v40
	s_delay_alu instid0(VALU_DEP_4)
	v_mul_f16_e64 v91, v86, v137
	v_fmac_f16_e32 v93, v86, v31
	v_sub_f16_e64 v86, v145, v46
	v_fma_f16 v64, v143, v29, -v64
	v_add_f16_e32 v41, v41, v37
	v_sub_f16_e32 v37, v37, v40
	v_add_f16_e32 v40, v40, v46
	v_lshrrev_b32_e32 v143, 16, v28
	v_fma_f16 v91, v182, v31, -v91
	v_add_f16_e64 v41, v41, v145
	v_add_f16_e32 v37, v37, v86
	v_add_f16_e32 v86, v88, v38
	v_fmac_f16_e32 v88, -0.5, v82
	v_fma_f16 v40, -0.5, v40, v151
	v_sub_f16_e32 v38, v39, v38
	v_add_f16_e32 v41, v41, v46
	v_add_f16_e32 v82, v86, v39
	s_wait_dscnt 0x9
	v_lshrrev_b32_e32 v182, 16, v66
	v_fmamk_f16 v46, v87, 0xbb9c, v40
	v_fmac_f16_e32 v40, 0x3b9c, v87
	v_add_f16_e32 v39, v82, v36
	v_sub_f16_e32 v36, v36, v47
	v_mul_f16_e64 v82, v203, v143
	s_delay_alu instid0(VALU_DEP_4)
	v_fmac_f16_e32 v40, 0xb8b4, v85
	v_fmac_f16_e32 v46, 0x38b4, v85
	v_add_f16_e32 v39, v39, v47
	v_fmamk_f16 v47, v92, 0x3b9c, v88
	v_fmac_f16_e32 v88, 0xbb9c, v92
	v_add_f16_e32 v36, v38, v36
	v_fmac_f16_e32 v40, 0x34f2, v37
	v_pack_b32_f16 v38, v41, v39
	v_lshrrev_b32_e32 v41, 16, v203
	v_fmac_f16_e32 v88, 0x38b4, v90
	v_fmac_f16_e32 v47, 0xb8b4, v90
	;; [unrolled: 1-line block ×3, first 2 shown]
	s_delay_alu instid0(VALU_DEP_4) | instskip(NEXT) | instid1(VALU_DEP_4)
	v_fmac_f16_e32 v82, v41, v28
	v_fmac_f16_e32 v88, 0x34f2, v36
	v_mul_f16_e64 v41, v41, v143
	v_fmac_f16_e32 v47, 0x34f2, v36
	s_delay_alu instid0(VALU_DEP_4) | instskip(NEXT) | instid1(VALU_DEP_4)
	v_sub_f16_e32 v95, v82, v93
	v_pack_b32_f16 v39, v40, v88
	v_pack_b32_f16 v40, v42, v89
	v_lshrrev_b32_e32 v42, 16, v43
	v_fma_f16 v86, v203, v28, -v41
	v_pack_b32_f16 v36, v46, v47
	v_lshrrev_b32_e32 v46, 16, v204
	s_delay_alu instid0(VALU_DEP_4) | instskip(SKIP_3) | instid1(VALU_DEP_4)
	v_fmac_f16_e32 v83, v42, v30
	v_mul_f16_e64 v42, v42, v142
	v_add_f16_e64 v41, v152, v86
	v_sub_f16_e64 v155, v86, v91
	v_sub_f16_e32 v92, v84, v83
	s_delay_alu instid0(VALU_DEP_4) | instskip(SKIP_2) | instid1(VALU_DEP_3)
	v_fma_f16 v87, v43, v30, -v42
	v_lshrrev_b32_e32 v42, 16, v152
	v_add_f16_e32 v41, v41, v64
	v_sub_f16_e64 v151, v64, v87
	s_delay_alu instid0(VALU_DEP_3) | instskip(NEXT) | instid1(VALU_DEP_3)
	v_add_f16_e32 v43, v42, v82
	v_add_f16_e32 v41, v41, v87
	s_delay_alu instid0(VALU_DEP_2) | instskip(NEXT) | instid1(VALU_DEP_2)
	v_add_f16_e32 v43, v43, v84
	v_add_f16_e32 v41, v41, v91
	s_delay_alu instid0(VALU_DEP_2) | instskip(NEXT) | instid1(VALU_DEP_1)
	v_add_f16_e32 v43, v43, v83
	v_add_f16_e32 v43, v43, v93
	s_delay_alu instid0(VALU_DEP_1)
	v_pack_b32_f16 v41, v41, v43
	ds_store_b32 v96, v39 offset:5152
	ds_store_b32 v96, v40 offset:6720
	ds_store_2addr_b32 v96, v38, v41 offset0:112 offset1:168
	v_add_f16_e32 v38, v64, v87
	v_sub_f16_e32 v39, v87, v91
	v_sub_f16_e32 v40, v83, v93
	s_delay_alu instid0(VALU_DEP_3) | instskip(SKIP_1) | instid1(VALU_DEP_1)
	v_fma_f16 v88, -0.5, v38, v152
	v_add_f16_e32 v38, v86, v91
	v_fmac_f16_e64 v152, -0.5, v38
	v_sub_f16_e32 v38, v64, v86
	s_delay_alu instid0(VALU_DEP_1) | instskip(SKIP_1) | instid1(VALU_DEP_1)
	v_add_f16_e32 v38, v38, v39
	v_add_f16_e32 v39, v84, v83
	v_fma_f16 v89, -0.5, v39, v42
	v_add_f16_e32 v39, v82, v93
	s_delay_alu instid0(VALU_DEP_1) | instskip(SKIP_1) | instid1(VALU_DEP_2)
	v_fmac_f16_e32 v42, -0.5, v39
	v_sub_f16_e32 v39, v84, v82
	v_fma_f16 v41, 0x3b9c, v151, v42
	s_delay_alu instid0(VALU_DEP_2) | instskip(SKIP_4) | instid1(VALU_DEP_4)
	v_add_f16_e32 v39, v39, v40
	v_fma_f16 v40, 0xbb9c, v92, v152
	v_fmac_f16_e64 v152, 0x3b9c, v92
	v_fmac_f16_e64 v42, 0xbb9c, v151
	;; [unrolled: 1-line block ×3, first 2 shown]
	v_fmac_f16_e32 v40, 0x38b4, v95
	s_delay_alu instid0(VALU_DEP_4) | instskip(NEXT) | instid1(VALU_DEP_4)
	v_fmac_f16_e64 v152, 0xb8b4, v95
	v_fmac_f16_e64 v42, 0x38b4, v155
	s_delay_alu instid0(VALU_DEP_4) | instskip(NEXT) | instid1(VALU_DEP_4)
	v_fmac_f16_e32 v41, 0x34f2, v39
	v_fmac_f16_e32 v40, 0x34f2, v38
	s_delay_alu instid0(VALU_DEP_4) | instskip(NEXT) | instid1(VALU_DEP_4)
	v_fmac_f16_e64 v152, 0x34f2, v38
	v_fmac_f16_e32 v42, 0x34f2, v39
	s_delay_alu instid0(VALU_DEP_3) | instskip(NEXT) | instid1(VALU_DEP_2)
	v_pack_b32_f16 v37, v40, v41
	v_pack_b32_f16 v152, v152, v42
	ds_store_2addr_b32 v157, v36, v37 offset0:128 offset1:184
	s_clause 0x1
	global_load_b128 v[36:39], v212, s[8:9] offset:1552
	global_load_b128 v[40:43], v216, s[8:9] offset:1552
	s_wait_loadcnt 0x1
	v_lshrrev_b32_e32 v148, 16, v36
	v_lshrrev_b32_e32 v145, 16, v38
	v_lshrrev_b32_e32 v171, 16, v37
	s_delay_alu instid0(VALU_DEP_3) | instskip(SKIP_1) | instid1(VALU_DEP_2)
	v_mul_f16_e64 v90, v204, v148
	v_mul_f16_e64 v47, v46, v148
	v_fmac_f16_e32 v90, v46, v36
	v_sub_f16_e32 v46, v86, v64
	v_lshrrev_b32_e32 v64, 16, v44
	s_delay_alu instid0(VALU_DEP_4) | instskip(SKIP_2) | instid1(VALU_DEP_4)
	v_fma_f16 v85, v204, v36, -v47
	v_sub_f16_e32 v47, v91, v87
	v_mul_f16_e64 v87, v44, v145
	v_mul_f16_e64 v86, v64, v145
	s_delay_alu instid0(VALU_DEP_2) | instskip(SKIP_1) | instid1(VALU_DEP_3)
	v_fmac_f16_e32 v87, v64, v38
	v_mul_f16_e64 v64, v74, v171
	v_fma_f16 v86, v44, v38, -v86
	v_add_f16_e32 v44, v46, v47
	v_fmamk_f16 v46, v95, 0x3b9c, v88
	v_fmac_f16_e32 v88, 0xbb9c, v95
	v_sub_f16_e32 v47, v82, v84
	v_sub_f16_e32 v82, v93, v83
	v_fma_f16 v83, 0xbb9c, v155, v89
	v_fmac_f16_e64 v89, 0x3b9c, v155
	v_fmac_f16_e32 v46, 0x38b4, v92
	v_fmac_f16_e32 v88, 0xb8b4, v92
	v_add_f16_e32 v47, v47, v82
	v_fmac_f16_e64 v83, 0xb8b4, v151
	v_fmac_f16_e64 v89, 0x38b4, v151
	v_lshrrev_b32_e32 v151, 16, v39
	v_fmac_f16_e32 v46, 0x34f2, v44
	v_fmac_f16_e32 v88, 0x34f2, v44
	;; [unrolled: 1-line block ×4, first 2 shown]
	v_lshrrev_b32_e32 v44, 16, v74
	v_lshrrev_b32_e32 v47, 16, v72
	v_mul_f16_e64 v82, v72, v151
	v_lshrrev_b32_e32 v92, 16, v70
	v_pack_b32_f16 v46, v46, v83
	v_fmac_f16_e32 v64, v44, v37
	v_mul_f16_e64 v44, v44, v171
	v_fmac_f16_e32 v82, v47, v39
	v_mul_f16_e64 v47, v47, v151
	s_delay_alu instid0(VALU_DEP_4) | instskip(NEXT) | instid1(VALU_DEP_4)
	v_add_f16_e32 v93, v64, v87
	v_fma_f16 v74, v74, v37, -v44
	s_delay_alu instid0(VALU_DEP_3) | instskip(NEXT) | instid1(VALU_DEP_3)
	v_fma_f16 v72, v72, v39, -v47
	v_fma_f16 v93, -0.5, v93, v92
	s_delay_alu instid0(VALU_DEP_3) | instskip(SKIP_1) | instid1(VALU_DEP_4)
	v_sub_f16_e32 v44, v85, v74
	v_sub_f16_e64 v161, v74, v86
	v_sub_f16_e32 v47, v72, v86
	v_sub_f16_e32 v95, v85, v72
	s_delay_alu instid0(VALU_DEP_2) | instskip(SKIP_2) | instid1(VALU_DEP_4)
	v_add_f16_e32 v84, v44, v47
	v_sub_f16_e32 v44, v90, v64
	v_sub_f16_e32 v47, v82, v87
	v_fma_f16 v155, 0xbb9c, v95, v93
	v_fmac_f16_e32 v93, 0x3b9c, v95
	s_delay_alu instid0(VALU_DEP_3)
	v_add_f16_e32 v91, v44, v47
	v_add_f16_e32 v47, v74, v86
	v_pack_b32_f16 v44, v88, v89
	v_sub_f16_e32 v88, v90, v82
	v_sub_f16_e32 v89, v64, v87
	v_fmac_f16_e64 v155, 0xb8b4, v161
	v_fma_f16 v83, -0.5, v47, v70
	v_fmac_f16_e64 v93, 0x38b4, v161
	s_delay_alu instid0(VALU_DEP_3) | instskip(NEXT) | instid1(VALU_DEP_3)
	v_fmac_f16_e64 v155, 0x34f2, v91
	v_fmamk_f16 v47, v88, 0x3b9c, v83
	v_fmac_f16_e32 v83, 0xbb9c, v88
	s_delay_alu instid0(VALU_DEP_4) | instskip(NEXT) | instid1(VALU_DEP_3)
	v_fmac_f16_e32 v93, 0x34f2, v91
	v_fmac_f16_e32 v47, 0x38b4, v89
	s_delay_alu instid0(VALU_DEP_3) | instskip(NEXT) | instid1(VALU_DEP_2)
	v_fmac_f16_e32 v83, 0xb8b4, v89
	v_fmac_f16_e32 v47, 0x34f2, v84
	s_delay_alu instid0(VALU_DEP_2) | instskip(NEXT) | instid1(VALU_DEP_2)
	v_fmac_f16_e32 v83, 0x34f2, v84
	v_pack_b32_f16 v47, v47, v155
	ds_store_b32 v96, v152 offset:5376
	ds_store_b32 v96, v44 offset:6944
	ds_store_2addr_b32 v79, v46, v47 offset0:48 offset1:104
	v_lshlrev_b32_e32 v44, 2, v45
	v_lshrrev_b32_e32 v155, 16, v75
	v_pack_b32_f16 v83, v83, v93
	global_load_b128 v[44:47], v44, s[8:9] offset:1552
	s_wait_loadcnt 0x0
	v_lshrrev_b32_e32 v173, 16, v45
	s_delay_alu instid0(VALU_DEP_1) | instskip(NEXT) | instid1(VALU_DEP_1)
	v_mul_f16_e64 v152, v155, v173
	v_fma_f16 v179, v75, v45, -v152
	v_lshrrev_b32_e32 v152, 16, v47
	v_mul_f16_e64 v75, v75, v173
	s_delay_alu instid0(VALU_DEP_2) | instskip(NEXT) | instid1(VALU_DEP_2)
	v_mul_f16_e64 v177, v175, v152
	v_fmac_f16_e64 v75, v155, v45
	v_add_f16_e64 v155, v70, v85
	s_delay_alu instid0(VALU_DEP_3) | instskip(SKIP_1) | instid1(VALU_DEP_3)
	v_fma_f16 v203, v73, v47, -v177
	v_mul_f16_e64 v73, v73, v152
	v_add_f16_e64 v155, v155, v74
	v_lshrrev_b32_e32 v177, 16, v44
	v_sub_f16_e32 v74, v74, v85
	v_add_f16_e32 v85, v85, v72
	v_fmac_f16_e64 v73, v175, v47
	v_add_f16_e64 v175, v92, v90
	v_add_f16_e64 v155, v155, v86
	v_mul_f16_e64 v204, v68, v177
	v_fma_f16 v70, -0.5, v85, v70
	s_delay_alu instid0(VALU_DEP_4) | instskip(NEXT) | instid1(VALU_DEP_4)
	v_add_f16_e64 v175, v175, v64
	v_add_f16_e64 v155, v155, v72
	v_sub_f16_e32 v72, v86, v72
	s_delay_alu instid0(VALU_DEP_4)
	v_fmamk_f16 v85, v89, 0xbb9c, v70
	v_fmac_f16_e32 v70, 0x3b9c, v89
	v_add_f16_e64 v175, v175, v87
	v_sub_f16_e32 v64, v64, v90
	v_add_f16_e32 v72, v74, v72
	v_add_f16_e32 v74, v90, v82
	v_fmac_f16_e32 v85, 0x38b4, v88
	v_add_f16_e64 v175, v175, v82
	v_fmac_f16_e32 v70, 0xb8b4, v88
	s_delay_alu instid0(VALU_DEP_4) | instskip(SKIP_1) | instid1(VALU_DEP_4)
	v_fmac_f16_e32 v92, -0.5, v74
	v_sub_f16_e32 v74, v87, v82
	v_pack_b32_f16 v155, v155, v175
	v_lshrrev_b32_e32 v175, 16, v68
	v_fmac_f16_e32 v85, 0x34f2, v72
	v_fma_f16 v82, 0x3b9c, v161, v92
	v_fmac_f16_e64 v92, 0xbb9c, v161
	v_fmac_f16_e32 v70, 0x34f2, v72
	v_fmac_f16_e64 v204, v175, v44
	v_mul_f16_e64 v181, v175, v177
	v_lshrrev_b32_e32 v175, 16, v46
	v_add_f16_e32 v64, v64, v74
	v_fmac_f16_e32 v82, 0xb8b4, v95
	v_fmac_f16_e32 v92, 0x38b4, v95
	v_fma_f16 v68, v68, v44, -v181
	v_mul_f16_e64 v205, v66, v175
	v_add_f16_e64 v84, v204, v73
	v_fmac_f16_e32 v82, 0x34f2, v64
	v_fmac_f16_e32 v92, 0x34f2, v64
	v_add_f16_e64 v74, v68, v203
	v_fmac_f16_e64 v205, v182, v46
	v_mul_f16_e64 v182, v182, v175
	v_add_f16_e64 v181, v71, v68
	v_sub_f16_e64 v64, v179, v68
	v_pack_b32_f16 v82, v85, v82
	v_sub_f16_e64 v86, v205, v73
	v_fma_f16 v66, v66, v46, -v182
	v_lshrrev_b32_e32 v182, 16, v71
	v_sub_f16_e64 v85, v75, v205
	v_add_f16_e64 v181, v181, v179
	v_sub_f16_e64 v89, v68, v203
	v_add_f16_e64 v72, v179, v66
	v_add_f16_e64 v206, v182, v204
	v_sub_f16_e64 v88, v179, v66
	v_add_f16_e64 v181, v181, v66
	v_pack_b32_f16 v70, v70, v92
	v_fma_f16 v72, -0.5, v72, v71
	v_fmac_f16_e32 v71, -0.5, v74
	v_sub_f16_e64 v74, v66, v203
	v_add_f16_e64 v206, v206, v75
	v_add_f16_e64 v181, v181, v203
	v_sub_f16_e64 v68, v68, v179
	v_fmamk_f16 v87, v85, 0xbb9c, v71
	v_add_f16_e32 v64, v64, v74
	v_add_f16_e64 v74, v75, v205
	v_add_f16_e64 v206, v206, v205
	v_fmac_f16_e32 v71, 0x3b9c, v85
	v_sub_f16_e64 v66, v203, v66
	v_lshrrev_b32_e32 v179, 16, v43
	v_fma_f16 v74, -0.5, v74, v182
	v_fmac_f16_e64 v182, -0.5, v84
	v_sub_f16_e64 v84, v75, v204
	v_add_f16_e64 v206, v206, v73
	v_add_f16_e32 v66, v68, v66
	v_lshrrev_b32_e32 v203, 16, v63
	v_fma_f16 v90, 0x3b9c, v88, v182
	v_add_f16_e32 v84, v84, v86
	v_sub_f16_e64 v86, v204, v73
	v_fmac_f16_e64 v182, 0xbb9c, v88
	v_pack_b32_f16 v181, v181, v206
	v_fmac_f16_e32 v90, 0xb8b4, v89
	v_sub_f16_e64 v73, v73, v205
	v_fmac_f16_e32 v87, 0x38b4, v86
	v_fmac_f16_e32 v71, 0xb8b4, v86
	v_fmac_f16_e64 v182, 0x38b4, v89
	v_fmac_f16_e32 v90, 0x34f2, v84
	ds_store_2addr_b32 v77, v155, v181 offset0:96 offset1:152
	v_fmac_f16_e32 v87, 0x34f2, v64
	v_fmac_f16_e32 v71, 0x34f2, v64
	v_fmac_f16_e64 v182, 0x34f2, v84
	v_lshrrev_b32_e32 v181, 16, v40
	v_lshrrev_b32_e32 v84, 16, v67
	v_pack_b32_f16 v87, v87, v90
	ds_store_b32 v96, v70 offset:5600
	ds_store_b32 v96, v83 offset:7168
	ds_store_2addr_b32 v80, v82, v87 offset0:112 offset1:168
	v_lshrrev_b32_e32 v70, 16, v69
	v_pack_b32_f16 v64, v71, v182
	v_lshrrev_b32_e32 v82, 16, v65
	v_lshrrev_b32_e32 v182, 16, v41
	;; [unrolled: 1-line block ×3, first 2 shown]
	v_mul_f16_e64 v71, v70, v181
	v_fmamk_f16 v68, v86, 0x3b9c, v72
	v_fmac_f16_e32 v72, 0xbb9c, v86
	v_mul_f16_e64 v83, v82, v182
	v_mul_f16_e64 v87, v84, v155
	v_fma_f16 v71, v69, v40, -v71
	v_mul_f16_e64 v69, v69, v181
	v_fmac_f16_e32 v68, 0x38b4, v85
	v_fma_f16 v83, v65, v41, -v83
	v_mul_f16_e64 v65, v65, v182
	v_fma_f16 v87, v67, v42, -v87
	v_fmac_f16_e32 v69, v70, v40
	v_sub_f16_e64 v70, v204, v75
	v_mul_f16_e64 v67, v67, v155
	v_fmac_f16_e32 v65, v82, v41
	v_fmamk_f16 v75, v89, 0xbb9c, v74
	v_fmac_f16_e32 v74, 0x3b9c, v89
	v_add_f16_e32 v70, v70, v73
	s_wait_dscnt 0x10
	v_lshrrev_b32_e32 v73, 16, v94
	v_fmac_f16_e32 v67, v84, v42
	v_fmac_f16_e32 v72, 0xb8b4, v85
	;; [unrolled: 1-line block ×4, first 2 shown]
	v_mul_f16_e64 v82, v73, v179
	v_mul_f16_e64 v84, v94, v179
	v_fmac_f16_e32 v68, 0x34f2, v66
	v_fmac_f16_e32 v72, 0x34f2, v66
	;; [unrolled: 1-line block ×3, first 2 shown]
	v_fma_f16 v82, v94, v43, -v82
	v_fmac_f16_e32 v84, v73, v43
	v_fmac_f16_e32 v74, 0x34f2, v70
	v_sub_f16_e32 v66, v71, v83
	v_add_f16_e32 v86, v65, v67
	v_sub_f16_e32 v70, v82, v87
	v_sub_f16_e32 v73, v84, v67
	v_pack_b32_f16 v72, v72, v74
	v_add_f16_e64 v74, v203, v69
	v_fma_f16 v206, -0.5, v86, v203
	v_add_f16_e32 v66, v66, v70
	v_sub_f16_e32 v70, v69, v65
	v_sub_f16_e32 v86, v71, v82
	v_add_f16_e32 v74, v74, v65
	v_pack_b32_f16 v68, v68, v75
	v_sub_f16_e32 v85, v65, v67
	v_add_f16_e32 v70, v70, v73
	v_add_f16_e32 v73, v63, v71
	;; [unrolled: 1-line block ×3, first 2 shown]
	v_fma_f16 v88, 0xbb9c, v86, v206
	v_sub_f16_e32 v89, v83, v87
	v_fmac_f16_e64 v206, 0x3b9c, v86
	v_add_f16_e32 v73, v73, v83
	v_add_f16_e32 v74, v74, v84
	s_delay_alu instid0(VALU_DEP_4) | instskip(NEXT) | instid1(VALU_DEP_4)
	v_fmac_f16_e32 v88, 0xb8b4, v89
	v_fmac_f16_e64 v206, 0x38b4, v89
	s_delay_alu instid0(VALU_DEP_4) | instskip(NEXT) | instid1(VALU_DEP_3)
	v_add_f16_e32 v73, v73, v87
	v_fmac_f16_e32 v88, 0x34f2, v70
	s_delay_alu instid0(VALU_DEP_3) | instskip(NEXT) | instid1(VALU_DEP_3)
	v_fmac_f16_e64 v206, 0x34f2, v70
	v_add_f16_e32 v73, v73, v82
	s_delay_alu instid0(VALU_DEP_1) | instskip(SKIP_1) | instid1(VALU_DEP_1)
	v_pack_b32_f16 v73, v73, v74
	v_add_f16_e32 v74, v83, v87
	v_fma_f16 v205, -0.5, v74, v63
	v_sub_f16_e32 v74, v69, v84
	s_delay_alu instid0(VALU_DEP_1) | instskip(SKIP_1) | instid1(VALU_DEP_2)
	v_fma_f16 v75, 0x3b9c, v74, v205
	v_fmac_f16_e64 v205, 0xbb9c, v74
	v_fmac_f16_e32 v75, 0x38b4, v85
	s_delay_alu instid0(VALU_DEP_2) | instskip(NEXT) | instid1(VALU_DEP_2)
	v_fmac_f16_e64 v205, 0xb8b4, v85
	v_fmac_f16_e32 v75, 0x34f2, v66
	s_delay_alu instid0(VALU_DEP_2) | instskip(NEXT) | instid1(VALU_DEP_2)
	v_fmac_f16_e64 v205, 0x34f2, v66
	v_pack_b32_f16 v75, v75, v88
	ds_store_b32 v96, v72 offset:7392
	ds_store_b32 v96, v64 offset:5824
	;; [unrolled: 1-line block ×3, first 2 shown]
	ds_store_2addr_b32 v79, v68, v75 offset0:160 offset1:216
	v_add_f16_e32 v64, v71, v82
	v_sub_f16_e32 v68, v87, v82
	s_delay_alu instid0(VALU_DEP_2) | instskip(SKIP_1) | instid1(VALU_DEP_2)
	v_fmac_f16_e32 v63, -0.5, v64
	v_sub_f16_e32 v64, v83, v71
	v_fma_f16 v204, 0xbb9c, v85, v63
	v_fmac_f16_e32 v63, 0x3b9c, v85
	s_delay_alu instid0(VALU_DEP_3) | instskip(NEXT) | instid1(VALU_DEP_3)
	v_add_f16_e32 v64, v64, v68
	v_fmac_f16_e64 v204, 0x38b4, v74
	s_delay_alu instid0(VALU_DEP_3) | instskip(NEXT) | instid1(VALU_DEP_2)
	v_fmac_f16_e32 v63, 0xb8b4, v74
	v_fmac_f16_e64 v204, 0x34f2, v64
	s_delay_alu instid0(VALU_DEP_2) | instskip(SKIP_1) | instid1(VALU_DEP_1)
	v_fmac_f16_e32 v63, 0x34f2, v64
	v_add_f16_e32 v64, v69, v84
	v_fmac_f16_e64 v203, -0.5, v64
	v_sub_f16_e32 v64, v65, v69
	v_sub_f16_e32 v65, v67, v84
	s_delay_alu instid0(VALU_DEP_3) | instskip(SKIP_1) | instid1(VALU_DEP_3)
	v_fma_f16 v161, 0x3b9c, v89, v203
	v_fmac_f16_e64 v203, 0xbb9c, v89
	v_add_f16_e32 v64, v64, v65
	s_delay_alu instid0(VALU_DEP_3) | instskip(NEXT) | instid1(VALU_DEP_3)
	v_fmac_f16_e64 v161, 0xb8b4, v86
	v_fmac_f16_e64 v203, 0x38b4, v86
	s_delay_alu instid0(VALU_DEP_2) | instskip(NEXT) | instid1(VALU_DEP_2)
	v_fmac_f16_e64 v161, 0x34f2, v64
	v_fmac_f16_e64 v203, 0x34f2, v64
	s_delay_alu instid0(VALU_DEP_2) | instskip(NEXT) | instid1(VALU_DEP_2)
	v_pack_b32_f16 v64, v204, v161
	v_pack_b32_f16 v65, v63, v203
	ds_store_b32 v96, v64 offset:4480
	v_pack_b32_f16 v64, v205, v206
	ds_store_b32 v96, v65 offset:6048
	ds_store_b32 v96, v64 offset:7616
	global_wb scope:SCOPE_SE
	s_wait_dscnt 0x0
	s_barrier_signal -1
	s_barrier_wait -1
	global_inv scope:SCOPE_SE
	s_clause 0x7
	global_load_b32 v66, v[48:49], off offset:7840
	global_load_b32 v75, v76, s[2:3] offset:224
	global_load_b32 v82, v76, s[2:3] offset:448
	;; [unrolled: 1-line block ×7, first 2 shown]
	ds_load_2addr_b32 v[64:65], v96 offset1:56
	s_wait_dscnt 0x0
	v_lshrrev_b32_e32 v68, 16, v64
	s_wait_loadcnt 0x7
	v_lshrrev_b32_e32 v67, 16, v66
	s_delay_alu instid0(VALU_DEP_1) | instskip(NEXT) | instid1(VALU_DEP_3)
	v_mul_f16_e32 v69, v64, v67
	v_mul_f16_e32 v67, v68, v67
	s_delay_alu instid0(VALU_DEP_2) | instskip(NEXT) | instid1(VALU_DEP_2)
	v_fmac_f16_e32 v69, v68, v66
	v_fma_f16 v64, v64, v66, -v67
	s_delay_alu instid0(VALU_DEP_1)
	v_pack_b32_f16 v64, v64, v69
	ds_store_b32 v96, v64
	s_clause 0x6
	global_load_b32 v64, v76, s[2:3] offset:6104
	global_load_b32 v69, v76, s[2:3] offset:6328
	;; [unrolled: 1-line block ×7, first 2 shown]
	ds_load_2addr_b32 v[66:67], v184 offset0:190 offset1:246
	s_wait_dscnt 0x0
	v_lshrrev_b32_e32 v70, 16, v67
	s_wait_loadcnt 0x6
	v_lshrrev_b32_e32 v68, 16, v64
	s_delay_alu instid0(VALU_DEP_1) | instskip(NEXT) | instid1(VALU_DEP_3)
	v_mul_f16_e32 v71, v67, v68
	v_mul_f16_e32 v68, v70, v68
	s_delay_alu instid0(VALU_DEP_2) | instskip(NEXT) | instid1(VALU_DEP_2)
	v_fmac_f16_e32 v71, v70, v64
	v_fma_f16 v64, v67, v64, -v68
	ds_load_2addr_b32 v[67:68], v78 offset0:46 offset1:102
	s_wait_loadcnt 0x5
	v_lshrrev_b32_e32 v70, 16, v69
	v_pack_b32_f16 v64, v64, v71
	s_wait_dscnt 0x0
	v_lshrrev_b32_e32 v72, 16, v67
	s_delay_alu instid0(VALU_DEP_3) | instskip(NEXT) | instid1(VALU_DEP_2)
	v_mul_f16_e32 v73, v67, v70
	v_mul_f16_e32 v70, v72, v70
	s_delay_alu instid0(VALU_DEP_2) | instskip(NEXT) | instid1(VALU_DEP_2)
	v_fmac_f16_e32 v73, v72, v69
	v_fma_f16 v67, v67, v69, -v70
	v_add_nc_u32_e32 v69, 0x1600, v96
	s_delay_alu instid0(VALU_DEP_2)
	v_pack_b32_f16 v67, v67, v73
	ds_store_2addr_b32 v69, v64, v67 offset0:118 offset1:174
	s_clause 0x3
	global_load_b32 v64, v76, s[2:3] offset:5040
	global_load_b32 v67, v76, s[2:3] offset:5264
	;; [unrolled: 1-line block ×4, first 2 shown]
	ds_load_2addr_b32 v[69:70], v159 offset0:180 offset1:236
	s_wait_dscnt 0x0
	v_lshrrev_b32_e32 v72, 16, v70
	s_wait_loadcnt 0x3
	v_lshrrev_b32_e32 v71, 16, v64
	s_delay_alu instid0(VALU_DEP_1) | instskip(NEXT) | instid1(VALU_DEP_3)
	v_mul_f16_e32 v73, v70, v71
	v_mul_f16_e32 v71, v72, v71
	s_delay_alu instid0(VALU_DEP_2) | instskip(NEXT) | instid1(VALU_DEP_2)
	v_fmac_f16_e32 v73, v72, v64
	v_fma_f16 v64, v70, v64, -v71
	ds_load_2addr_b32 v[70:71], v184 offset0:36 offset1:92
	s_wait_loadcnt 0x2
	v_lshrrev_b32_e32 v72, 16, v67
	v_pack_b32_f16 v64, v64, v73
	s_wait_dscnt 0x0
	v_lshrrev_b32_e32 v74, 16, v70
	s_delay_alu instid0(VALU_DEP_3) | instskip(NEXT) | instid1(VALU_DEP_2)
	v_mul_f16_e32 v95, v70, v72
	v_mul_f16_e32 v72, v74, v72
	s_delay_alu instid0(VALU_DEP_2) | instskip(NEXT) | instid1(VALU_DEP_2)
	v_fmac_f16_e32 v95, v74, v67
	v_fma_f16 v67, v70, v67, -v72
	ds_load_2addr_b32 v[72:73], v78 offset0:158 offset1:214
	v_pack_b32_f16 v67, v67, v95
	ds_store_2addr_b32 v81, v64, v67 offset0:108 offset1:164
	global_load_b32 v64, v76, s[2:3] offset:7000
	s_wait_dscnt 0x1
	v_lshrrev_b32_e32 v70, 16, v73
	s_wait_loadcnt 0x0
	v_lshrrev_b32_e32 v67, 16, v64
	s_delay_alu instid0(VALU_DEP_1) | instskip(NEXT) | instid1(VALU_DEP_3)
	v_mul_f16_e32 v81, v73, v67
	v_mul_f16_e32 v67, v70, v67
	s_delay_alu instid0(VALU_DEP_2) | instskip(NEXT) | instid1(VALU_DEP_2)
	v_fmac_f16_e32 v81, v70, v64
	v_fma_f16 v64, v73, v64, -v67
	ds_load_2addr_b32 v[73:74], v201 offset0:14 offset1:70
	v_lshrrev_b32_e32 v67, 16, v83
	v_pack_b32_f16 v64, v64, v81
	s_wait_dscnt 0x0
	v_lshrrev_b32_e32 v70, 16, v73
	s_delay_alu instid0(VALU_DEP_3) | instskip(NEXT) | instid1(VALU_DEP_2)
	v_mul_f16_e32 v95, v73, v67
	v_mul_f16_e32 v67, v70, v67
	s_delay_alu instid0(VALU_DEP_2) | instskip(SKIP_1) | instid1(VALU_DEP_3)
	v_fmac_f16_e32 v95, v70, v83
	v_add_nc_u32_e32 v70, 0x1a00, v96
	v_fma_f16 v67, v73, v83, -v67
	s_delay_alu instid0(VALU_DEP_1) | instskip(SKIP_3) | instid1(VALU_DEP_1)
	v_pack_b32_f16 v67, v67, v95
	ds_store_2addr_b32 v70, v64, v67 offset0:86 offset1:142
	v_lshrrev_b32_e32 v64, 16, v66
	v_lshrrev_b32_e32 v67, 16, v84
	v_mul_f16_e32 v70, v64, v67
	v_mul_f16_e32 v73, v66, v67
	s_delay_alu instid0(VALU_DEP_2) | instskip(NEXT) | instid1(VALU_DEP_2)
	v_fma_f16 v70, v66, v84, -v70
	v_fmac_f16_e32 v73, v64, v84
	v_lshrrev_b32_e32 v64, 16, v65
	v_lshrrev_b32_e32 v66, 16, v75
	s_delay_alu instid0(VALU_DEP_1) | instskip(SKIP_1) | instid1(VALU_DEP_2)
	v_mul_f16_e32 v67, v64, v66
	v_mul_f16_e32 v81, v65, v66
	v_fma_f16 v67, v65, v75, -v67
	s_delay_alu instid0(VALU_DEP_2)
	v_fmac_f16_e32 v81, v64, v75
	s_clause 0x1
	global_load_b32 v75, v76, s[2:3] offset:1960
	global_load_b32 v83, v76, s[2:3] offset:2184
	v_add_nc_u32_e32 v64, 0x600, v96
	s_clause 0x5
	global_load_b32 v84, v76, s[2:3] offset:2408
	global_load_b32 v95, v76, s[2:3] offset:2632
	;; [unrolled: 1-line block ×6, first 2 shown]
	v_pack_b32_f16 v67, v67, v81
	ds_load_2addr_b32 v[65:66], v64 offset0:106 offset1:162
	s_wait_dscnt 0x0
	v_lshrrev_b32_e32 v213, 16, v65
	s_wait_loadcnt 0x7
	v_lshrrev_b32_e32 v211, 16, v75
	s_delay_alu instid0(VALU_DEP_1) | instskip(NEXT) | instid1(VALU_DEP_3)
	v_mul_f16_e64 v214, v65, v211
	v_mul_f16_e64 v211, v213, v211
	s_delay_alu instid0(VALU_DEP_2) | instskip(NEXT) | instid1(VALU_DEP_2)
	v_fmac_f16_e64 v214, v213, v75
	v_fma_f16 v75, v65, v75, -v211
	v_lshrrev_b32_e32 v65, 16, v66
	s_wait_loadcnt 0x6
	v_lshrrev_b32_e32 v211, 16, v83
	s_delay_alu instid0(VALU_DEP_1) | instskip(SKIP_1) | instid1(VALU_DEP_2)
	v_mul_f16_e64 v213, v65, v211
	v_mul_f16_e64 v211, v66, v211
	v_fma_f16 v213, v66, v83, -v213
	s_delay_alu instid0(VALU_DEP_2)
	v_fmac_f16_e64 v211, v65, v83
	s_clause 0x3
	global_load_b32 v83, v76, s[2:3] offset:3920
	global_load_b32 v223, v76, s[2:3] offset:4144
	;; [unrolled: 1-line block ×4, first 2 shown]
	ds_load_2addr_b32 v[65:66], v80 offset0:84 offset1:140
	s_wait_dscnt 0x0
	v_lshrrev_b32_e32 v172, 16, v65
	s_wait_loadcnt 0x3
	v_lshrrev_b32_e32 v229, 16, v83
	s_delay_alu instid0(VALU_DEP_1) | instskip(NEXT) | instid1(VALU_DEP_3)
	v_mul_f16_e64 v178, v65, v229
	v_mul_f16_e64 v229, v172, v229
	s_delay_alu instid0(VALU_DEP_2) | instskip(NEXT) | instid1(VALU_DEP_2)
	v_fmac_f16_e64 v178, v172, v83
	v_fma_f16 v172, v65, v83, -v229
	v_lshrrev_b32_e32 v65, 16, v66
	s_wait_loadcnt 0x2
	v_lshrrev_b32_e32 v83, 16, v223
	s_delay_alu instid0(VALU_DEP_1) | instskip(SKIP_2) | instid1(VALU_DEP_3)
	v_mul_f16_e64 v229, v65, v83
	v_mul_f16_e64 v228, v66, v83
	v_lshrrev_b32_e32 v83, 16, v82
	v_fma_f16 v229, v66, v223, -v229
	s_delay_alu instid0(VALU_DEP_3) | instskip(SKIP_4) | instid1(VALU_DEP_2)
	v_fmac_f16_e64 v228, v65, v223
	ds_load_2addr_b32 v[65:66], v96 offset0:112 offset1:168
	s_wait_dscnt 0x0
	v_lshrrev_b32_e32 v223, 16, v65
	v_mul_f16_e64 v202, v65, v83
	v_mul_f16_e64 v83, v223, v83
	s_delay_alu instid0(VALU_DEP_2) | instskip(NEXT) | instid1(VALU_DEP_2)
	v_fmac_f16_e64 v202, v223, v82
	v_fma_f16 v65, v65, v82, -v83
	ds_load_2addr_b32 v[81:82], v79 offset0:90 offset1:146
	v_pack_b32_f16 v65, v65, v202
	ds_store_2addr_b32 v96, v67, v65 offset0:56 offset1:112
	v_lshrrev_b32_e32 v65, 16, v84
	s_wait_dscnt 0x1
	v_lshrrev_b32_e32 v67, 16, v81
	s_delay_alu instid0(VALU_DEP_2) | instskip(NEXT) | instid1(VALU_DEP_2)
	v_mul_f16_e32 v83, v81, v65
	v_mul_f16_e32 v65, v67, v65
	s_delay_alu instid0(VALU_DEP_2) | instskip(SKIP_1) | instid1(VALU_DEP_3)
	v_fmac_f16_e32 v83, v67, v84
	v_pack_b32_f16 v67, v213, v211
	v_fma_f16 v65, v81, v84, -v65
	s_delay_alu instid0(VALU_DEP_1)
	v_pack_b32_f16 v65, v65, v83
	ds_load_2addr_b32 v[83:84], v159 offset0:68 offset1:124
	ds_store_2addr_b32 v79, v67, v65 offset0:34 offset1:90
	s_wait_loadcnt 0x1
	v_lshrrev_b32_e32 v65, 16, v224
	s_wait_dscnt 0x1
	v_lshrrev_b32_e32 v67, 16, v83
	s_delay_alu instid0(VALU_DEP_2) | instskip(NEXT) | instid1(VALU_DEP_2)
	v_mul_f16_e32 v81, v83, v65
	v_mul_f16_e32 v65, v67, v65
	s_delay_alu instid0(VALU_DEP_2) | instskip(SKIP_1) | instid1(VALU_DEP_3)
	v_fmac_f16_e64 v81, v67, v224
	v_pack_b32_f16 v67, v229, v228
	v_fma_f16 v65, v83, v224, -v65
	s_delay_alu instid0(VALU_DEP_1) | instskip(SKIP_3) | instid1(VALU_DEP_1)
	v_pack_b32_f16 v65, v65, v81
	ds_store_2addr_b32 v159, v67, v65 offset0:12 offset1:68
	v_lshrrev_b32_e32 v65, 16, v66
	v_lshrrev_b32_e32 v67, 16, v85
	v_mul_f16_e32 v81, v65, v67
	v_mul_f16_e32 v67, v66, v67
	s_delay_alu instid0(VALU_DEP_2) | instskip(SKIP_1) | instid1(VALU_DEP_3)
	v_fma_f16 v81, v66, v85, -v81
	v_lshrrev_b32_e32 v66, 16, v95
	v_fmac_f16_e32 v67, v65, v85
	v_lshrrev_b32_e32 v65, 16, v82
	s_delay_alu instid0(VALU_DEP_3) | instskip(NEXT) | instid1(VALU_DEP_3)
	v_mul_f16_e32 v85, v82, v66
	v_pack_b32_f16 v67, v81, v67
	s_delay_alu instid0(VALU_DEP_3)
	v_mul_f16_e32 v83, v65, v66
	s_wait_loadcnt 0x0
	v_lshrrev_b32_e32 v66, 16, v226
	v_lshrrev_b32_e32 v81, 16, v207
	v_fmac_f16_e32 v85, v65, v95
	v_lshrrev_b32_e32 v65, 16, v84
	v_fma_f16 v82, v82, v95, -v83
	v_mul_f16_e32 v95, v84, v66
	s_delay_alu instid0(VALU_DEP_3) | instskip(SKIP_1) | instid1(VALU_DEP_3)
	v_mul_f16_e32 v83, v65, v66
	v_lshrrev_b32_e32 v66, 16, v90
	v_fmac_f16_e64 v95, v65, v226
	v_lshrrev_b32_e32 v65, 16, v68
	s_delay_alu instid0(VALU_DEP_4) | instskip(NEXT) | instid1(VALU_DEP_4)
	v_fma_f16 v83, v84, v226, -v83
	v_mul_f16_e64 v202, v68, v66
	s_delay_alu instid0(VALU_DEP_3) | instskip(SKIP_1) | instid1(VALU_DEP_3)
	v_mul_f16_e32 v84, v65, v66
	v_lshrrev_b32_e32 v66, 16, v94
	v_fmac_f16_e64 v202, v65, v90
	v_lshrrev_b32_e32 v65, 16, v69
	s_delay_alu instid0(VALU_DEP_4) | instskip(NEXT) | instid1(VALU_DEP_4)
	v_fma_f16 v84, v68, v90, -v84
	v_mul_f16_e32 v90, v69, v66
	s_delay_alu instid0(VALU_DEP_3) | instskip(SKIP_1) | instid1(VALU_DEP_3)
	v_mul_f16_e32 v68, v65, v66
	v_lshrrev_b32_e32 v66, 16, v92
	v_fmac_f16_e32 v90, v65, v94
	v_lshrrev_b32_e32 v65, 16, v72
	s_delay_alu instid0(VALU_DEP_4) | instskip(NEXT) | instid1(VALU_DEP_4)
	v_fma_f16 v69, v69, v94, -v68
	v_mul_f16_e32 v94, v72, v66
	s_delay_alu instid0(VALU_DEP_3) | instskip(NEXT) | instid1(VALU_DEP_3)
	v_mul_f16_e32 v68, v65, v66
	v_pack_b32_f16 v69, v69, v90
	s_delay_alu instid0(VALU_DEP_3)
	v_fmac_f16_e32 v94, v65, v92
	ds_load_2addr_b32 v[65:66], v77 offset0:96 offset1:152
	v_fma_f16 v72, v72, v92, -v68
	v_lshrrev_b32_e32 v68, 16, v86
	s_wait_dscnt 0x0
	v_lshrrev_b32_e32 v92, 16, v65
	s_delay_alu instid0(VALU_DEP_2) | instskip(NEXT) | instid1(VALU_DEP_2)
	v_mul_f16_e64 v211, v65, v68
	v_mul_f16_e32 v68, v92, v68
	s_delay_alu instid0(VALU_DEP_2) | instskip(NEXT) | instid1(VALU_DEP_2)
	v_fmac_f16_e64 v211, v92, v86
	v_fma_f16 v65, v65, v86, -v68
	s_delay_alu instid0(VALU_DEP_1)
	v_pack_b32_f16 v65, v65, v211
	ds_store_2addr_b32 v96, v67, v65 offset0:168 offset1:224
	v_add_nc_u32_e32 v65, 0xa00, v96
	ds_load_2addr_b32 v[67:68], v65 offset0:74 offset1:130
	s_wait_dscnt 0x0
	v_lshrrev_b32_e32 v86, 16, v67
	v_mul_f16_e32 v92, v67, v81
	s_delay_alu instid0(VALU_DEP_2) | instskip(NEXT) | instid1(VALU_DEP_2)
	v_mul_f16_e32 v81, v86, v81
	v_fmac_f16_e64 v92, v86, v207
	s_delay_alu instid0(VALU_DEP_2) | instskip(SKIP_1) | instid1(VALU_DEP_2)
	v_fma_f16 v67, v67, v207, -v81
	v_pack_b32_f16 v81, v82, v85
	v_pack_b32_f16 v67, v67, v92
	ds_store_2addr_b32 v79, v81, v67 offset0:146 offset1:202
	v_pack_b32_f16 v67, v83, v95
	ds_store_2addr_b32 v159, v67, v69 offset0:124 offset1:180
	v_pack_b32_f16 v67, v84, v202
	v_pack_b32_f16 v69, v72, v94
	ds_store_2addr_b32 v78, v67, v69 offset0:102 offset1:158
	v_lshrrev_b32_e32 v67, 16, v66
	v_lshrrev_b32_e32 v69, 16, v87
	s_delay_alu instid0(VALU_DEP_1) | instskip(SKIP_1) | instid1(VALU_DEP_2)
	v_mul_f16_e32 v72, v67, v69
	v_mul_f16_e32 v69, v66, v69
	v_fma_f16 v72, v66, v87, -v72
	s_delay_alu instid0(VALU_DEP_2) | instskip(SKIP_2) | instid1(VALU_DEP_2)
	v_fmac_f16_e32 v69, v67, v87
	v_lshrrev_b32_e32 v67, 16, v208
	v_lshrrev_b32_e32 v66, 16, v68
	v_mul_f16_e32 v82, v68, v67
	s_delay_alu instid0(VALU_DEP_2) | instskip(NEXT) | instid1(VALU_DEP_2)
	v_mul_f16_e32 v81, v66, v67
	v_fmac_f16_e64 v82, v66, v208
	ds_load_2addr_b32 v[66:67], v160 offset0:80 offset1:136
	v_fma_f16 v81, v68, v208, -v81
	v_lshrrev_b32_e32 v68, 16, v88
	s_wait_dscnt 0x0
	v_lshrrev_b32_e32 v83, 16, v66
	s_delay_alu instid0(VALU_DEP_2) | instskip(NEXT) | instid1(VALU_DEP_2)
	v_mul_f16_e32 v84, v66, v68
	v_mul_f16_e32 v68, v83, v68
	s_delay_alu instid0(VALU_DEP_2) | instskip(NEXT) | instid1(VALU_DEP_2)
	v_fmac_f16_e32 v84, v83, v88
	v_fma_f16 v66, v66, v88, -v68
	v_pack_b32_f16 v68, v72, v69
	s_delay_alu instid0(VALU_DEP_2)
	v_pack_b32_f16 v66, v66, v84
	ds_store_2addr_b32 v160, v68, v66 offset0:24 offset1:80
	ds_load_2addr_b32 v[68:69], v157 offset0:58 offset1:114
	v_lshrrev_b32_e32 v66, 16, v209
	s_wait_dscnt 0x0
	v_lshrrev_b32_e32 v72, 16, v68
	s_delay_alu instid0(VALU_DEP_2) | instskip(NEXT) | instid1(VALU_DEP_2)
	v_mul_f16_e32 v83, v68, v66
	v_mul_f16_e32 v66, v72, v66
	s_delay_alu instid0(VALU_DEP_2) | instskip(NEXT) | instid1(VALU_DEP_2)
	v_fmac_f16_e64 v83, v72, v209
	v_fma_f16 v66, v68, v209, -v66
	v_pack_b32_f16 v68, v81, v82
	s_delay_alu instid0(VALU_DEP_2) | instskip(SKIP_3) | instid1(VALU_DEP_1)
	v_pack_b32_f16 v66, v66, v83
	ds_store_2addr_b32 v157, v68, v66 offset0:2 offset1:58
	v_lshrrev_b32_e32 v66, 16, v67
	v_lshrrev_b32_e32 v68, 16, v89
	v_mul_f16_e32 v72, v66, v68
	v_mul_f16_e32 v68, v67, v68
	s_delay_alu instid0(VALU_DEP_2) | instskip(NEXT) | instid1(VALU_DEP_2)
	v_fma_f16 v67, v67, v89, -v72
	v_fmac_f16_e32 v68, v66, v89
	v_lshrrev_b32_e32 v66, 16, v69
	v_lshrrev_b32_e32 v72, 16, v210
	s_delay_alu instid0(VALU_DEP_3) | instskip(NEXT) | instid1(VALU_DEP_2)
	v_pack_b32_f16 v67, v67, v68
	v_mul_f16_e32 v81, v66, v72
	v_mul_f16_e32 v72, v69, v72
	s_delay_alu instid0(VALU_DEP_2) | instskip(NEXT) | instid1(VALU_DEP_2)
	v_fma_f16 v69, v69, v210, -v81
	v_fmac_f16_e64 v72, v66, v210
	v_lshrrev_b32_e32 v66, 16, v71
	v_lshrrev_b32_e32 v81, 16, v93
	s_delay_alu instid0(VALU_DEP_1) | instskip(SKIP_1) | instid1(VALU_DEP_2)
	v_mul_f16_e32 v82, v66, v81
	v_mul_f16_e32 v81, v71, v81
	v_fma_f16 v71, v71, v93, -v82
	s_delay_alu instid0(VALU_DEP_2) | instskip(SKIP_2) | instid1(VALU_DEP_1)
	v_fmac_f16_e32 v81, v66, v93
	v_lshrrev_b32_e32 v66, 16, v74
	v_lshrrev_b32_e32 v82, 16, v91
	v_mul_f16_e32 v83, v66, v82
	v_mul_f16_e32 v82, v74, v82
	s_delay_alu instid0(VALU_DEP_2) | instskip(NEXT) | instid1(VALU_DEP_2)
	v_fma_f16 v74, v74, v91, -v83
	v_fmac_f16_e32 v82, v66, v91
	v_pack_b32_f16 v66, v75, v214
	ds_store_2addr_b32 v160, v67, v66 offset0:136 offset1:234
	v_pack_b32_f16 v66, v172, v178
	v_pack_b32_f16 v67, v69, v72
	ds_store_2addr_b32 v157, v67, v66 offset0:114 offset1:212
	v_pack_b32_f16 v66, v70, v73
	;; [unrolled: 3-line block ×3, first 2 shown]
	ds_store_b32 v96, v66 offset:7448
	s_and_saveexec_b32 s1, vcc_lo
	s_cbranch_execz .LBB0_15
; %bb.14:
	s_wait_alu 0xfffe
	v_add_co_u32 v66, s2, s2, v76
	s_wait_alu 0xf1ff
	v_add_co_ci_u32_e64 v67, null, s3, 0, s2
	s_clause 0x3
	global_load_b32 v68, v[66:67], off offset:1792
	global_load_b32 v69, v[66:67], off offset:3752
	global_load_b32 v70, v[66:67], off offset:5712
	global_load_b32 v66, v[66:67], off offset:7672
	ds_load_b32 v67, v96 offset:1792
	ds_load_b32 v71, v96 offset:3752
	;; [unrolled: 1-line block ×4, first 2 shown]
	s_wait_dscnt 0x3
	v_lshrrev_b32_e32 v74, 16, v67
	s_wait_dscnt 0x2
	v_lshrrev_b32_e32 v75, 16, v71
	s_wait_dscnt 0x1
	v_lshrrev_b32_e32 v76, 16, v72
	s_wait_dscnt 0x0
	v_lshrrev_b32_e32 v82, 16, v73
	s_wait_loadcnt 0x3
	v_lshrrev_b32_e32 v81, 16, v68
	s_wait_loadcnt 0x2
	v_lshrrev_b32_e32 v83, 16, v69
	;; [unrolled: 2-line block ×4, first 2 shown]
	v_mul_f16_e32 v86, v74, v81
	v_mul_f16_e32 v81, v67, v81
	;; [unrolled: 1-line block ×8, first 2 shown]
	v_fma_f16 v67, v67, v68, -v86
	v_fmac_f16_e32 v81, v74, v68
	v_fma_f16 v68, v71, v69, -v87
	v_fmac_f16_e32 v83, v75, v69
	;; [unrolled: 2-line block ×4, first 2 shown]
	v_pack_b32_f16 v66, v67, v81
	v_pack_b32_f16 v67, v68, v83
	;; [unrolled: 1-line block ×3, first 2 shown]
	s_delay_alu instid0(VALU_DEP_4)
	v_pack_b32_f16 v69, v70, v85
	ds_store_b32 v96, v66 offset:1792
	ds_store_b32 v96, v67 offset:3752
	;; [unrolled: 1-line block ×4, first 2 shown]
.LBB0_15:
	s_wait_alu 0xfffe
	s_or_b32 exec_lo, exec_lo, s1
	global_wb scope:SCOPE_SE
	s_wait_dscnt 0x0
	s_barrier_signal -1
	s_barrier_wait -1
	global_inv scope:SCOPE_SE
	ds_load_2addr_b32 v[88:89], v96 offset1:56
	ds_load_2addr_b32 v[90:91], v64 offset0:106 offset1:162
	ds_load_2addr_b32 v[92:93], v80 offset0:84 offset1:140
	;; [unrolled: 1-line block ×15, first 2 shown]
	s_and_saveexec_b32 s1, vcc_lo
	s_cbranch_execz .LBB0_17
; %bb.16:
	ds_load_b32 v204, v96 offset:1792
	ds_load_b32 v63, v96 offset:3752
	;; [unrolled: 1-line block ×4, first 2 shown]
	s_wait_dscnt 0x3
	v_lshrrev_b32_e32 v161, 16, v204
	s_wait_dscnt 0x2
	v_lshrrev_b32_e32 v203, 16, v63
	;; [unrolled: 2-line block ×4, first 2 shown]
.LBB0_17:
	s_wait_alu 0xfffe
	s_or_b32 exec_lo, exec_lo, s1
	s_wait_dscnt 0xc
	v_pk_add_f16 v94, v90, v94 neg_lo:[0,1] neg_hi:[0,1]
	v_pk_add_f16 v92, v88, v92 neg_lo:[0,1] neg_hi:[0,1]
	s_wait_dscnt 0x9
	v_pk_add_f16 v84, v80, v84 neg_lo:[0,1] neg_hi:[0,1]
	s_wait_dscnt 0x8
	v_pk_add_f16 v86, v82, v86 neg_lo:[0,1] neg_hi:[0,1]
	global_wb scope:SCOPE_SE
	s_wait_dscnt 0x0
	v_pk_fma_f16 v90, v90, 2.0, v94 op_sel_hi:[1,0,1] neg_lo:[0,0,1] neg_hi:[0,0,1]
	v_pk_fma_f16 v88, v88, 2.0, v92 op_sel_hi:[1,0,1] neg_lo:[0,0,1] neg_hi:[0,0,1]
	v_lshrrev_b32_e32 v157, 16, v94
	v_lshrrev_b32_e32 v159, 16, v92
	s_barrier_signal -1
	s_barrier_wait -1
	v_pk_add_f16 v209, v88, v90 neg_lo:[0,1] neg_hi:[0,1]
	v_add_f16_e64 v157, v92, v157
	v_pk_add_f16 v90, v91, v95 neg_lo:[0,1] neg_hi:[0,1]
	v_sub_f16_e64 v160, v159, v94
	global_inv scope:SCOPE_SE
	v_pk_fma_f16 v207, v88, 2.0, v209 op_sel_hi:[1,0,1] neg_lo:[0,0,1] neg_hi:[0,0,1]
	v_pk_add_f16 v88, v89, v93 neg_lo:[0,1] neg_hi:[0,1]
	v_fma_f16 v172, v92, 2.0, -v157
	v_pk_fma_f16 v93, v91, 2.0, v90 op_sel_hi:[1,0,1] neg_lo:[0,0,1] neg_hi:[0,0,1]
	v_fma_f16 v159, v159, 2.0, -v160
	v_pack_b32_f16 v210, v157, v160
	v_pk_fma_f16 v92, v89, 2.0, v88 op_sel_hi:[1,0,1] neg_lo:[0,0,1] neg_hi:[0,0,1]
	v_lshrrev_b32_e32 v89, 16, v90
	v_lshrrev_b32_e32 v91, 16, v88
	v_pack_b32_f16 v208, v172, v159
	v_pk_fma_f16 v80, v80, 2.0, v84 op_sel_hi:[1,0,1] neg_lo:[0,0,1] neg_hi:[0,0,1]
	v_pk_fma_f16 v82, v82, 2.0, v86 op_sel_hi:[1,0,1] neg_lo:[0,0,1] neg_hi:[0,0,1]
	v_add_f16_e32 v89, v88, v89
	v_sub_f16_e32 v90, v91, v90
	ds_store_b128 v221, v[207:210]
	v_pk_add_f16 v79, v73, v79 neg_lo:[0,1] neg_hi:[0,1]
	v_pk_add_f16 v77, v75, v77 neg_lo:[0,1] neg_hi:[0,1]
	v_fma_f16 v88, v88, 2.0, -v89
	v_fma_f16 v94, v91, 2.0, -v90
	v_pack_b32_f16 v91, v89, v90
	v_pk_add_f16 v90, v92, v93 neg_lo:[0,1] neg_hi:[0,1]
	v_pk_add_f16 v68, v66, v68 neg_lo:[0,1] neg_hi:[0,1]
	v_pk_fma_f16 v73, v73, 2.0, v79 op_sel_hi:[1,0,1] neg_lo:[0,0,1] neg_hi:[0,0,1]
	v_pack_b32_f16 v89, v88, v94
	v_pk_add_f16 v69, v67, v69 neg_lo:[0,1] neg_hi:[0,1]
	v_pk_fma_f16 v88, v92, 2.0, v90 op_sel_hi:[1,0,1] neg_lo:[0,0,1] neg_hi:[0,0,1]
	v_pk_add_f16 v71, v65, v71 neg_lo:[0,1] neg_hi:[0,1]
	s_delay_alu instid0(VALU_DEP_3) | instskip(SKIP_4) | instid1(VALU_DEP_3)
	v_pk_fma_f16 v93, v67, 2.0, v69 op_sel_hi:[1,0,1] neg_lo:[0,0,1] neg_hi:[0,0,1]
	ds_store_b128 v219, v[88:91]
	v_lshrrev_b32_e32 v88, 16, v84
	v_lshrrev_b32_e32 v89, 16, v86
	;; [unrolled: 1-line block ×3, first 2 shown]
	v_sub_f16_e32 v90, v88, v86
	s_delay_alu instid0(VALU_DEP_3) | instskip(SKIP_1) | instid1(VALU_DEP_3)
	v_add_f16_e32 v89, v84, v89
	v_pk_add_f16 v86, v74, v76 neg_lo:[0,1] neg_hi:[0,1]
	v_fma_f16 v88, v88, 2.0, -v90
	s_delay_alu instid0(VALU_DEP_3)
	v_fma_f16 v92, v84, 2.0, -v89
	v_pack_b32_f16 v91, v89, v90
	v_pk_add_f16 v90, v80, v82 neg_lo:[0,1] neg_hi:[0,1]
	v_pk_add_f16 v82, v81, v85 neg_lo:[0,1] neg_hi:[0,1]
	v_pk_fma_f16 v74, v74, 2.0, v86 op_sel_hi:[1,0,1] neg_lo:[0,0,1] neg_hi:[0,0,1]
	v_pack_b32_f16 v89, v92, v88
	v_pk_fma_f16 v92, v75, 2.0, v77 op_sel_hi:[1,0,1] neg_lo:[0,0,1] neg_hi:[0,0,1]
	v_pk_fma_f16 v88, v80, 2.0, v90 op_sel_hi:[1,0,1] neg_lo:[0,0,1] neg_hi:[0,0,1]
	v_pk_add_f16 v80, v83, v87 neg_lo:[0,1] neg_hi:[0,1]
	v_lshrrev_b32_e32 v85, 16, v82
	v_pk_add_f16 v87, v72, v78 neg_lo:[0,1] neg_hi:[0,1]
	ds_store_b128 v220, v[88:91]
	v_lshrrev_b32_e32 v84, 16, v80
	v_pk_fma_f16 v83, v83, 2.0, v80 op_sel_hi:[1,0,1] neg_lo:[0,0,1] neg_hi:[0,0,1]
	v_sub_f16_e32 v78, v85, v80
	v_lshrrev_b32_e32 v80, 16, v86
	v_pk_fma_f16 v89, v81, 2.0, v82 op_sel_hi:[1,0,1] neg_lo:[0,0,1] neg_hi:[0,0,1]
	v_add_f16_e32 v76, v82, v84
	v_lshrrev_b32_e32 v84, 16, v87
	v_lshrrev_b32_e32 v90, 16, v79
	;; [unrolled: 1-line block ×3, first 2 shown]
	v_pk_fma_f16 v75, v72, 2.0, v87 op_sel_hi:[1,0,1] neg_lo:[0,0,1] neg_hi:[0,0,1]
	v_fma_f16 v81, v82, 2.0, -v76
	v_fma_f16 v82, v85, 2.0, -v78
	v_sub_f16_e32 v85, v80, v87
	v_add_f16_e32 v84, v86, v84
	v_pack_b32_f16 v78, v76, v78
	v_pk_add_f16 v87, v64, v70 neg_lo:[0,1] neg_hi:[0,1]
	v_pack_b32_f16 v76, v81, v82
	v_add_f16_e32 v81, v77, v90
	v_fma_f16 v88, v86, 2.0, -v84
	v_pack_b32_f16 v82, v84, v85
	v_sub_f16_e32 v84, v91, v79
	v_fma_f16 v80, v80, 2.0, -v85
	v_fma_f16 v77, v77, 2.0, -v81
	v_lshrrev_b32_e32 v79, 16, v68
	v_pk_fma_f16 v64, v64, 2.0, v87 op_sel_hi:[1,0,1] neg_lo:[0,0,1] neg_hi:[0,0,1]
	v_fma_f16 v85, v91, 2.0, -v84
	v_pack_b32_f16 v72, v81, v84
	v_pack_b32_f16 v80, v88, v80
	v_sub_f16_e32 v81, v79, v87
	s_delay_alu instid0(VALU_DEP_4) | instskip(SKIP_1) | instid1(VALU_DEP_3)
	v_pack_b32_f16 v70, v77, v85
	v_lshrrev_b32_e32 v77, 16, v87
	v_fma_f16 v79, v79, 2.0, -v81
	s_delay_alu instid0(VALU_DEP_2) | instskip(NEXT) | instid1(VALU_DEP_1)
	v_add_f16_e32 v77, v68, v77
	v_fma_f16 v84, v68, 2.0, -v77
	v_pk_fma_f16 v68, v66, 2.0, v68 op_sel_hi:[1,0,1] neg_lo:[0,0,1] neg_hi:[0,0,1]
	v_lshrrev_b32_e32 v66, 16, v71
	v_pack_b32_f16 v86, v77, v81
	v_pk_add_f16 v81, v74, v75 neg_lo:[0,1] neg_hi:[0,1]
	v_sub_f16_e32 v75, v67, v71
	v_pk_add_f16 v77, v89, v83 neg_lo:[0,1] neg_hi:[0,1]
	v_add_f16_e32 v66, v69, v66
	v_pk_fma_f16 v83, v65, 2.0, v71 op_sel_hi:[1,0,1] neg_lo:[0,0,1] neg_hi:[0,0,1]
	v_pk_add_f16 v71, v92, v73 neg_lo:[0,1] neg_hi:[0,1]
	v_fma_f16 v67, v67, 2.0, -v75
	v_pk_add_f16 v85, v68, v64 neg_lo:[0,1] neg_hi:[0,1]
	v_fma_f16 v69, v69, 2.0, -v66
	v_pack_b32_f16 v90, v66, v75
	v_sub_f16_e64 v64, v204, v205
	v_sub_f16_e64 v66, v203, v127
	;; [unrolled: 1-line block ×3, first 2 shown]
	v_pack_b32_f16 v88, v69, v67
	v_sub_f16_e32 v67, v63, v126
	v_pk_fma_f16 v75, v89, 2.0, v77 op_sel_hi:[1,0,1] neg_lo:[0,0,1] neg_hi:[0,0,1]
	v_pk_add_f16 v89, v93, v83 neg_lo:[0,1] neg_hi:[0,1]
	v_pk_fma_f16 v69, v92, 2.0, v71 op_sel_hi:[1,0,1] neg_lo:[0,0,1] neg_hi:[0,0,1]
	v_add_f16_e32 v91, v66, v64
	v_sub_f16_e32 v92, v65, v67
	v_pack_b32_f16 v84, v84, v79
	v_pk_fma_f16 v79, v74, 2.0, v81 op_sel_hi:[1,0,1] neg_lo:[0,0,1] neg_hi:[0,0,1]
	v_pk_fma_f16 v83, v68, 2.0, v85 op_sel_hi:[1,0,1] neg_lo:[0,0,1] neg_hi:[0,0,1]
	;; [unrolled: 1-line block ×3, first 2 shown]
	ds_store_b128 v97, v[75:78]
	ds_store_b128 v212, v[79:82]
	;; [unrolled: 1-line block ×5, first 2 shown]
	s_and_saveexec_b32 s1, vcc_lo
	s_cbranch_execz .LBB0_19
; %bb.18:
	v_fma_f16 v68, v204, 2.0, -v64
	v_fma_f16 v63, v63, 2.0, -v67
	;; [unrolled: 1-line block ×6, first 2 shown]
	v_sub_f16_e32 v63, v68, v63
	s_delay_alu instid0(VALU_DEP_4) | instskip(NEXT) | instid1(VALU_DEP_3)
	v_sub_f16_e32 v66, v67, v66
	v_pack_b32_f16 v64, v64, v65
	s_delay_alu instid0(VALU_DEP_3) | instskip(NEXT) | instid1(VALU_DEP_3)
	v_fma_f16 v68, v68, 2.0, -v63
	v_fma_f16 v67, v67, 2.0, -v66
	v_pack_b32_f16 v65, v63, v66
	v_perm_b32 v66, v92, v91, 0x5040100
	s_delay_alu instid0(VALU_DEP_3)
	v_pack_b32_f16 v63, v68, v67
	ds_store_b128 v218, v[63:66]
.LBB0_19:
	s_wait_alu 0xfffe
	s_or_b32 exec_lo, exec_lo, s1
	v_add_nc_u32_e32 v67, 0x800, v96
	v_add_nc_u32_e32 v68, 0xc00, v96
	global_wb scope:SCOPE_SE
	s_wait_dscnt 0x0
	s_barrier_signal -1
	s_barrier_wait -1
	global_inv scope:SCOPE_SE
	ds_load_2addr_b32 v[63:64], v67 offset0:48 offset1:104
	ds_load_2addr_b32 v[65:66], v68 offset0:16 offset1:72
	;; [unrolled: 1-line block ×4, first 2 shown]
	s_wait_dscnt 0x3
	v_lshrrev_b32_e32 v75, 16, v63
	v_lshrrev_b32_e32 v77, 16, v64
	v_mul_f16_e64 v82, v169, v63
	v_mul_f16_e64 v83, v169, v64
	s_wait_dscnt 0x1
	v_lshrrev_b32_e32 v78, 16, v69
	v_mul_f16_e64 v202, v169, v75
	v_mul_f16_e64 v172, v169, v77
	v_lshrrev_b32_e32 v80, 16, v70
	v_lshrrev_b32_e32 v87, 16, v65
	s_wait_dscnt 0x0
	v_lshrrev_b32_e32 v86, 16, v72
	v_fmac_f16_e64 v202, v1, v63
	v_add_nc_u32_e32 v63, 0xe00, v96
	v_fmac_f16_e64 v172, v1, v64
	v_mul_f16_e64 v84, v169, v69
	v_mul_f16_e64 v85, v169, v70
	;; [unrolled: 1-line block ×3, first 2 shown]
	ds_load_2addr_b32 v[63:64], v63 offset0:112 offset1:168
	v_mul_f16_e64 v88, v169, v78
	v_mul_f16_e64 v74, v169, v80
	;; [unrolled: 1-line block ×4, first 2 shown]
	v_lshrrev_b32_e32 v76, 16, v66
	v_lshrrev_b32_e32 v93, 16, v73
	v_fmac_f16_e32 v74, v1, v70
	v_fmac_f16_e32 v71, v1, v65
	v_fmac_f16_e64 v169, v2, v72
	v_mul_f16_e64 v70, v168, v72
	v_add_nc_u32_e32 v65, 0x400, v96
	v_mul_f16_e64 v207, v168, v76
	v_fmac_f16_e32 v88, v1, v69
	v_mul_f16_e64 v89, v168, v93
	v_mul_f16_e64 v69, v168, v66
	;; [unrolled: 1-line block ×3, first 2 shown]
	v_fmac_f16_e64 v207, v2, v66
	v_add_nc_u32_e32 v66, 0x200, v96
	v_fmac_f16_e32 v89, v2, v73
	s_wait_dscnt 0x0
	v_lshrrev_b32_e32 v126, 16, v63
	v_lshrrev_b32_e32 v127, 16, v64
	v_mul_f16_e64 v178, v168, v63
	v_mul_f16_e64 v201, v168, v64
	v_fma_f16 v228, v2, v76, -v69
	v_mul_f16_e64 v79, v168, v126
	v_mul_f16_e64 v72, v168, v127
	v_add_nc_u32_e32 v69, 0x1000, v96
	v_fma_f16 v226, v1, v75, -v82
	v_fma_f16 v205, v1, v77, -v83
	v_fmac_f16_e32 v79, v2, v63
	v_fmac_f16_e32 v72, v2, v64
	ds_load_2addr_b32 v[63:64], v65 offset0:80 offset1:136
	ds_load_2addr_b32 v[75:76], v69 offset0:96 offset1:152
	v_fma_f16 v83, v2, v126, -v178
	v_fma_f16 v85, v1, v80, -v85
	s_wait_dscnt 0x1
	v_lshrrev_b32_e32 v157, 16, v63
	v_lshrrev_b32_e32 v159, 16, v64
	v_mul_f16_e64 v160, v167, v63
	v_mul_f16_e64 v161, v167, v64
	s_wait_dscnt 0x0
	v_lshrrev_b32_e32 v82, 16, v75
	v_mul_f16_e64 v168, v167, v157
	v_mul_f16_e64 v94, v167, v159
	v_fma_f16 v206, v0, v157, -v160
	v_fma_f16 v160, v0, v159, -v161
	v_mul_f16_e64 v229, v166, v82
	v_fmac_f16_e64 v168, v0, v63
	v_fmac_f16_e32 v94, v0, v64
	ds_load_2addr_b32 v[63:64], v65 offset0:192 offset1:248
	v_fma_f16 v157, v2, v93, -v95
	v_fmac_f16_e64 v229, v3, v75
	v_mul_f16_e64 v75, v166, v75
	v_fma_f16 v159, v1, v78, -v84
	s_delay_alu instid0(VALU_DEP_2)
	v_fma_f16 v216, v3, v82, -v75
	s_wait_dscnt 0x0
	v_lshrrev_b32_e32 v208, 16, v63
	v_lshrrev_b32_e32 v209, 16, v64
	v_mul_f16_e64 v210, v167, v63
	v_mul_f16_e64 v211, v167, v64
	s_delay_alu instid0(VALU_DEP_4) | instskip(NEXT) | instid1(VALU_DEP_4)
	v_mul_f16_e64 v81, v167, v208
	v_mul_f16_e64 v73, v167, v209
	s_delay_alu instid0(VALU_DEP_2) | instskip(NEXT) | instid1(VALU_DEP_2)
	v_fmac_f16_e32 v81, v0, v63
	v_fmac_f16_e32 v73, v0, v64
	ds_load_2addr_b32 v[63:64], v66 offset0:96 offset1:152
	s_wait_dscnt 0x0
	v_lshrrev_b32_e32 v184, 16, v64
	v_mul_f16_e64 v203, v167, v64
	s_delay_alu instid0(VALU_DEP_2) | instskip(SKIP_1) | instid1(VALU_DEP_3)
	v_mul_f16_e64 v223, v167, v184
	v_lshrrev_b32_e32 v167, 16, v76
	v_fma_f16 v224, v0, v184, -v203
	v_fma_f16 v203, v2, v86, -v70
	v_add_nc_u32_e32 v70, 0x1200, v96
	v_fma_f16 v86, v0, v208, -v210
	v_mul_f16_e64 v184, v166, v167
	v_fmac_f16_e64 v223, v0, v64
	s_delay_alu instid0(VALU_DEP_2) | instskip(SKIP_1) | instid1(VALU_DEP_1)
	v_fmac_f16_e64 v184, v3, v76
	v_mul_f16_e64 v76, v166, v76
	v_fma_f16 v204, v3, v167, -v76
	ds_load_2addr_b32 v[75:76], v70 offset0:80 offset1:136
	s_wait_dscnt 0x0
	v_lshrrev_b32_e32 v77, 16, v75
	v_lshrrev_b32_e32 v78, 16, v76
	s_delay_alu instid0(VALU_DEP_2) | instskip(NEXT) | instid1(VALU_DEP_2)
	v_mul_f16_e64 v161, v166, v77
	v_mul_f16_e64 v82, v166, v78
	s_delay_alu instid0(VALU_DEP_2) | instskip(SKIP_1) | instid1(VALU_DEP_3)
	v_fmac_f16_e64 v161, v3, v75
	v_mul_f16_e64 v75, v166, v75
	v_fmac_f16_e32 v82, v3, v76
	v_mul_f16_e64 v76, v166, v76
	s_delay_alu instid0(VALU_DEP_3) | instskip(SKIP_2) | instid1(VALU_DEP_4)
	v_fma_f16 v167, v3, v77, -v75
	v_fma_f16 v75, v2, v127, -v201
	v_add_nc_u32_e32 v2, 0x1400, v96
	v_fma_f16 v84, v3, v78, -v76
	v_fma_f16 v76, v1, v87, -v90
	;; [unrolled: 1-line block ×3, first 2 shown]
	ds_load_2addr_b32 v[126:127], v2 offset0:64 offset1:120
	s_wait_dscnt 0x0
	v_lshrrev_b32_e32 v1, 16, v126
	v_mul_f16_e64 v80, v166, v126
	v_lshrrev_b32_e32 v87, 16, v127
	v_mul_f16_e64 v93, v165, v127
	s_delay_alu instid0(VALU_DEP_4) | instskip(NEXT) | instid1(VALU_DEP_4)
	v_mul_f16_e64 v78, v166, v1
	v_fma_f16 v80, v3, v1, -v80
	ds_load_2addr_b32 v[0:1], v2 offset0:176 offset1:232
	v_mul_f16_e64 v208, v165, v87
	v_fma_f16 v215, v53, v87, -v93
	v_fmac_f16_e32 v78, v3, v126
	v_add_nc_u32_e32 v3, 0x1800, v96
	s_delay_alu instid0(VALU_DEP_4)
	v_fmac_f16_e64 v208, v53, v127
	s_wait_dscnt 0x0
	v_lshrrev_b32_e32 v95, 16, v0
	v_lshrrev_b32_e32 v126, 16, v1
	v_mul_f16_e64 v127, v165, v0
	v_mul_f16_e64 v178, v165, v1
	s_delay_alu instid0(VALU_DEP_4) | instskip(NEXT) | instid1(VALU_DEP_4)
	v_mul_f16_e64 v210, v165, v95
	v_mul_f16_e64 v166, v165, v126
	s_delay_alu instid0(VALU_DEP_4) | instskip(NEXT) | instid1(VALU_DEP_4)
	v_fma_f16 v211, v53, v95, -v127
	v_fma_f16 v178, v53, v126, -v178
	s_delay_alu instid0(VALU_DEP_4) | instskip(NEXT) | instid1(VALU_DEP_4)
	v_fmac_f16_e64 v210, v53, v0
	v_fmac_f16_e64 v166, v53, v1
	ds_load_2addr_b32 v[0:1], v3 offset0:32 offset1:88
	s_wait_dscnt 0x0
	v_lshrrev_b32_e32 v209, 16, v0
	v_lshrrev_b32_e32 v217, 16, v1
	v_mul_f16_e64 v218, v165, v0
	v_mul_f16_e64 v212, v165, v1
	s_delay_alu instid0(VALU_DEP_4) | instskip(NEXT) | instid1(VALU_DEP_4)
	v_mul_f16_e64 v90, v165, v209
	v_mul_f16_e64 v64, v165, v217
	s_delay_alu instid0(VALU_DEP_4)
	v_fma_f16 v126, v53, v209, -v218
	v_add_f16_e64 v218, v202, v208
	v_sub_f16_e64 v202, v202, v208
	v_fmac_f16_e32 v90, v53, v0
	v_fmac_f16_e32 v64, v53, v1
	ds_load_2addr_b32 v[0:1], v3 offset0:144 offset1:200
	v_fma_f16 v53, v53, v217, -v212
	v_add_f16_e64 v208, v207, v229
	v_sub_f16_e64 v207, v229, v207
	s_delay_alu instid0(VALU_DEP_1) | instskip(NEXT) | instid1(VALU_DEP_1)
	v_sub_f16_e64 v229, v207, v202
	v_mul_f16_e64 v229, 0x3846, v229
	s_wait_dscnt 0x0
	v_lshrrev_b32_e32 v87, 16, v0
	v_mul_f16_e64 v93, v164, v0
	v_mul_f16_e64 v201, v164, v1
	s_delay_alu instid0(VALU_DEP_3) | instskip(NEXT) | instid1(VALU_DEP_3)
	v_mul_f16_e64 v220, v164, v87
	v_fma_f16 v219, v54, v87, -v93
	v_lshrrev_b32_e32 v87, 16, v1
	v_add_nc_u32_e32 v93, 0x1c00, v96
	s_delay_alu instid0(VALU_DEP_4) | instskip(NEXT) | instid1(VALU_DEP_4)
	v_fmac_f16_e64 v220, v54, v0
	v_add_f16_e64 v212, v224, v219
	s_delay_alu instid0(VALU_DEP_4)
	v_mul_f16_e64 v213, v164, v87
	v_fma_f16 v214, v54, v87, -v201
	v_sub_f16_e64 v217, v224, v219
	v_add_f16_e64 v219, v226, v215
	v_sub_f16_e64 v209, v223, v220
	v_fmac_f16_e64 v213, v54, v1
	ds_load_2addr_b32 v[0:1], v93 offset1:56
	v_sub_f16_e64 v215, v226, v215
	v_sub_f16_e64 v226, v208, v218
	;; [unrolled: 1-line block ×3, first 2 shown]
	s_delay_alu instid0(VALU_DEP_1) | instskip(SKIP_3) | instid1(VALU_DEP_2)
	v_fma_f16 v234, 0xb574, v222, v229
	s_wait_dscnt 0x0
	v_lshrrev_b32_e32 v127, 16, v0
	v_lshrrev_b32_e32 v221, 16, v1
	v_mul_f16_e64 v165, v164, v127
	s_delay_alu instid0(VALU_DEP_2) | instskip(NEXT) | instid1(VALU_DEP_2)
	v_mul_f16_e64 v95, v164, v221
	v_fmac_f16_e64 v165, v54, v0
	v_mul_f16_e64 v0, v164, v0
	s_delay_alu instid0(VALU_DEP_3) | instskip(SKIP_1) | instid1(VALU_DEP_3)
	v_fmac_f16_e32 v95, v54, v1
	v_mul_f16_e64 v1, v164, v1
	v_fma_f16 v201, v54, v127, -v0
	ds_load_b32 v0, v96 offset:7616
	v_fma_f16 v127, v54, v221, -v1
	s_wait_dscnt 0x0
	v_lshrrev_b32_e32 v1, 16, v0
	s_delay_alu instid0(VALU_DEP_1) | instskip(SKIP_1) | instid1(VALU_DEP_2)
	v_mul_f16_e64 v87, v164, v1
	v_mul_f16_e64 v164, v164, v0
	v_fmac_f16_e32 v87, v54, v0
	s_delay_alu instid0(VALU_DEP_2) | instskip(SKIP_4) | instid1(VALU_DEP_4)
	v_fma_f16 v54, v54, v1, -v164
	v_add_f16_e64 v164, v223, v220
	v_add_f16_e64 v220, v228, v216
	v_sub_f16_e64 v216, v216, v228
	v_add_f16_e64 v228, v207, v202
	v_add_f16_e64 v0, v218, v164
	s_delay_alu instid0(VALU_DEP_3) | instskip(SKIP_2) | instid1(VALU_DEP_4)
	v_add_f16_e64 v207, v216, v215
	v_sub_f16_e64 v225, v216, v215
	v_sub_f16_e64 v216, v217, v216
	v_add_f16_e64 v221, v208, v0
	v_add_f16_e64 v0, v219, v212
	;; [unrolled: 1-line block ×3, first 2 shown]
	v_mul_f16_e64 v225, 0x3846, v225
	v_add_f16_e64 v228, v228, v209
	s_delay_alu instid0(VALU_DEP_4) | instskip(SKIP_3) | instid1(VALU_DEP_2)
	v_add_f16_e64 v223, v220, v0
	ds_load_2addr_b32 v[0:1], v96 offset1:56
	v_fma_f16 v233, 0xb574, v216, v225
	v_fmac_f16_e64 v234, 0xb70e, v228
	v_fmac_f16_e64 v233, 0xb70e, v227
	s_wait_dscnt 0x0
	v_lshrrev_b32_e32 v224, 16, v0
	v_add_f16_e64 v0, v0, v221
	s_delay_alu instid0(VALU_DEP_2) | instskip(NEXT) | instid1(VALU_DEP_2)
	v_add_f16_e64 v224, v224, v223
	v_fma_f16 v221, 0xbcab, v221, v0
	s_delay_alu instid0(VALU_DEP_2) | instskip(SKIP_4) | instid1(VALU_DEP_3)
	v_fma_f16 v223, 0xbcab, v223, v224
	v_pack_b32_f16 v0, v0, v224
	v_sub_f16_e64 v224, v164, v208
	v_sub_f16_e64 v208, v212, v220
	;; [unrolled: 1-line block ×3, first 2 shown]
	v_mul_f16_e64 v224, 0x3a52, v224
	s_delay_alu instid0(VALU_DEP_3) | instskip(NEXT) | instid1(VALU_DEP_2)
	v_mul_f16_e64 v230, 0x3a52, v208
	v_fma_f16 v207, 0x2b26, v226, v224
	s_delay_alu instid0(VALU_DEP_1) | instskip(NEXT) | instid1(VALU_DEP_3)
	v_add_f16_e64 v231, v207, v221
	v_fma_f16 v207, 0x2b26, v220, v230
	s_delay_alu instid0(VALU_DEP_1) | instskip(NEXT) | instid1(VALU_DEP_3)
	v_add_f16_e64 v232, v207, v223
	v_add_f16_e64 v207, v233, v231
	s_delay_alu instid0(VALU_DEP_2) | instskip(NEXT) | instid1(VALU_DEP_1)
	v_sub_f16_e64 v208, v232, v234
	v_pack_b32_f16 v97, v207, v208
	ds_load_2addr_b32 v[207:208], v96 offset0:112 offset1:168
	global_wb scope:SCOPE_SE
	s_wait_dscnt 0x0
	s_barrier_signal -1
	s_barrier_wait -1
	global_inv scope:SCOPE_SE
	ds_store_2addr_b32 v174, v0, v97 offset1:4
	v_sub_f16_e64 v0, v218, v164
	v_sub_f16_e64 v164, v202, v209
	;; [unrolled: 1-line block ×4, first 2 shown]
	v_mul_f16_e64 v209, 0x2b26, v226
	v_mul_f16_e64 v212, 0x2b26, v220
	v_fma_f16 v215, v164, 0xbb00, -v229
	v_mul_f16_e64 v164, 0xbb00, v164
	v_fma_f16 v217, v202, 0xbb00, -v225
	;; [unrolled: 2-line block ×3, first 2 shown]
	v_fma_f16 v0, v0, 0xb9e0, -v224
	v_fma_f16 v212, v97, 0x39e0, -v212
	;; [unrolled: 1-line block ×5, first 2 shown]
	v_add_f16_e64 v0, v0, v221
	v_add_f16_e64 v209, v209, v221
	;; [unrolled: 1-line block ×3, first 2 shown]
	v_fmac_f16_e64 v164, 0xb70e, v228
	v_fmac_f16_e64 v202, 0xb70e, v227
	v_add_f16_e64 v212, v212, v223
	v_fmac_f16_e64 v215, 0xb70e, v228
	v_fmac_f16_e64 v217, 0xb70e, v227
	v_sub_f16_e64 v218, v97, v164
	v_add_f16_e64 v216, v202, v0
	v_sub_f16_e64 v0, v0, v202
	v_add_f16_e64 v219, v215, v212
	;; [unrolled: 2-line block ×3, first 2 shown]
	v_pack_b32_f16 v216, v216, v218
	v_sub_f16_e64 v218, v209, v217
	v_add_f16_e64 v209, v217, v209
	v_add_f16_e64 v202, v205, v211
	v_pack_b32_f16 v0, v0, v97
	v_add_f16_e64 v97, v234, v232
	v_pack_b32_f16 v218, v218, v219
	v_pack_b32_f16 v164, v209, v212
	v_lshrrev_b32_e32 v209, 16, v1
	v_sub_f16_e64 v205, v205, v211
	ds_store_2addr_b32 v174, v216, v218 offset0:8 offset1:12
	ds_store_2addr_b32 v174, v164, v0 offset0:16 offset1:20
	v_sub_f16_e64 v0, v231, v233
	v_add_f16_e64 v164, v206, v214
	s_delay_alu instid0(VALU_DEP_2)
	v_pack_b32_f16 v0, v0, v97
	v_sub_f16_e64 v97, v168, v213
	ds_store_b32 v174, v0 offset:96
	v_add_f16_e64 v0, v168, v213
	v_add_f16_e64 v174, v172, v210
	v_sub_f16_e64 v168, v206, v214
	v_sub_f16_e64 v172, v172, v210
	v_add_f16_e64 v206, v169, v184
	v_sub_f16_e64 v169, v184, v169
	v_add_f16_e64 v184, v203, v204
	;; [unrolled: 2-line block ×3, first 2 shown]
	v_add_f16_e64 v210, v202, v164
	v_sub_f16_e64 v213, v169, v172
	v_sub_f16_e64 v211, v164, v184
	;; [unrolled: 1-line block ×3, first 2 shown]
	v_add_f16_e64 v204, v206, v204
	v_add_f16_e64 v210, v184, v210
	v_sub_f16_e64 v184, v184, v202
	v_add_f16_e64 v212, v169, v172
	v_sub_f16_e64 v169, v97, v169
	v_add_f16_e64 v1, v1, v204
	v_add_f16_e64 v209, v209, v210
	;; [unrolled: 1-line block ×3, first 2 shown]
	v_sub_f16_e64 v203, v168, v203
	v_mul_f16_e64 v211, 0x3a52, v211
	v_fma_f16 v204, 0xbcab, v204, v1
	v_fma_f16 v210, 0xbcab, v210, v209
	v_pack_b32_f16 v1, v1, v209
	v_sub_f16_e64 v209, v0, v206
	v_sub_f16_e64 v206, v206, v174
	v_mul_f16_e64 v213, 0x3846, v213
	v_mul_f16_e64 v215, 0x3846, v215
	v_add_f16_e64 v212, v212, v97
	v_mul_f16_e64 v209, 0x3a52, v209
	v_add_f16_e64 v214, v214, v168
	v_fma_f16 v217, 0x2b26, v184, v211
	v_fma_f16 v218, 0xb574, v203, v215
	;; [unrolled: 1-line block ×4, first 2 shown]
	v_sub_f16_e64 v97, v172, v97
	v_add_f16_e64 v217, v217, v210
	v_fmac_f16_e64 v218, 0xb70e, v214
	v_fmac_f16_e64 v219, 0xb70e, v212
	v_add_f16_e64 v216, v216, v204
	v_sub_f16_e64 v0, v174, v0
	v_fma_f16 v174, v97, 0xbb00, -v213
	v_mul_f16_e32 v97, 0xbb00, v97
	v_sub_f16_e64 v221, v217, v219
	v_add_f16_e64 v220, v218, v216
	v_mul_f16_e64 v172, 0x2b26, v184
	v_fmac_f16_e64 v174, 0xb70e, v212
	v_fma_f16 v97, v169, 0x3574, -v97
	s_delay_alu instid0(VALU_DEP_4) | instskip(NEXT) | instid1(VALU_DEP_2)
	v_pack_b32_f16 v220, v220, v221
	v_fmac_f16_e64 v97, 0xb70e, v212
	ds_store_2addr_b32 v170, v1, v220 offset1:4
	v_sub_f16_e64 v1, v202, v164
	v_sub_f16_e64 v164, v205, v168
	v_mul_f16_e64 v168, 0x2b26, v206
	s_delay_alu instid0(VALU_DEP_3) | instskip(NEXT) | instid1(VALU_DEP_3)
	v_fma_f16 v172, v1, 0x39e0, -v172
	v_fma_f16 v169, v164, 0xbb00, -v215
	v_mul_f16_e64 v164, 0xbb00, v164
	s_delay_alu instid0(VALU_DEP_4)
	v_fma_f16 v168, v0, 0x39e0, -v168
	v_fma_f16 v0, v0, 0xb9e0, -v209
	v_fma_f16 v1, v1, 0xb9e0, -v211
	v_add_f16_e64 v172, v172, v210
	v_fma_f16 v164, v203, 0x3574, -v164
	v_add_f16_e64 v168, v168, v204
	v_add_f16_e64 v0, v0, v204
	;; [unrolled: 1-line block ×3, first 2 shown]
	v_fmac_f16_e64 v169, 0xb70e, v214
	v_fmac_f16_e64 v164, 0xb70e, v214
	v_add_f16_e64 v203, v174, v172
	s_delay_alu instid0(VALU_DEP_4) | instskip(SKIP_1) | instid1(VALU_DEP_4)
	v_sub_f16_e64 v202, v1, v97
	v_add_f16_e32 v1, v97, v1
	v_add_f16_e64 v184, v164, v0
	v_sub_f16_e64 v0, v0, v164
	v_add_f16_e64 v164, v159, v178
	v_sub_f16_e64 v159, v159, v178
	s_delay_alu instid0(VALU_DEP_4)
	v_pack_b32_f16 v184, v184, v202
	v_sub_f16_e64 v202, v168, v169
	v_add_f16_e64 v168, v169, v168
	v_sub_f16_e64 v169, v172, v174
	v_pack_b32_f16 v0, v0, v1
	v_add_f16_e64 v1, v219, v217
	v_pack_b32_f16 v202, v202, v203
	s_delay_alu instid0(VALU_DEP_4)
	v_pack_b32_f16 v97, v168, v169
	v_lshrrev_b32_e32 v168, 16, v207
	ds_store_2addr_b32 v170, v184, v202 offset0:8 offset1:12
	ds_store_2addr_b32 v170, v97, v0 offset0:16 offset1:20
	v_sub_f16_e64 v0, v216, v218
	v_sub_f16_e64 v97, v160, v201
	s_delay_alu instid0(VALU_DEP_2)
	v_pack_b32_f16 v0, v0, v1
	v_sub_f16_e64 v1, v94, v165
	ds_store_b32 v170, v0 offset:96
	v_add_f16_e64 v0, v94, v165
	v_add_f16_e64 v94, v160, v201
	;; [unrolled: 1-line block ×3, first 2 shown]
	v_sub_f16_e64 v88, v88, v166
	v_add_f16_e64 v165, v89, v161
	v_sub_f16_e64 v89, v161, v89
	v_add_f16_e64 v161, v157, v167
	;; [unrolled: 2-line block ×3, first 2 shown]
	v_add_f16_e64 v167, v164, v94
	v_add_f16_e64 v172, v89, v88
	v_sub_f16_e64 v174, v89, v88
	v_sub_f16_e32 v89, v1, v89
	v_add_f16_e64 v166, v165, v166
	v_add_f16_e64 v167, v161, v167
	v_sub_f16_e64 v184, v157, v159
	v_add_f16_e64 v172, v172, v1
	v_mul_f16_e64 v174, 0x3846, v174
	v_add_f16_e64 v169, v207, v166
	v_add_f16_e64 v168, v168, v167
	v_sub_f16_e32 v1, v88, v1
	v_sub_f16_e64 v170, v94, v161
	v_sub_f16_e64 v161, v161, v164
	v_fma_f16 v166, 0xbcab, v166, v169
	v_fma_f16 v167, 0xbcab, v167, v168
	v_pack_b32_f16 v168, v169, v168
	v_sub_f16_e64 v169, v0, v165
	v_sub_f16_e64 v165, v165, v160
	v_add_f16_e64 v178, v157, v159
	v_mul_f16_e64 v184, 0x3846, v184
	v_sub_f16_e64 v0, v160, v0
	v_sub_f16_e64 v88, v159, v97
	v_fma_f16 v160, v1, 0xbb00, -v174
	v_mul_f16_e32 v1, 0xbb00, v1
	v_sub_f16_e64 v157, v97, v157
	v_mul_f16_e64 v169, 0x3a52, v169
	v_add_f16_e64 v178, v178, v97
	v_mul_f16_e64 v170, 0x3a52, v170
	v_fma_f16 v204, 0xb574, v89, v174
	v_sub_f16_e64 v94, v164, v94
	v_mul_f16_e64 v97, 0x2b26, v165
	v_mul_f16_e64 v159, 0x2b26, v161
	v_fma_f16 v1, v89, 0x3574, -v1
	v_fma_f16 v89, v88, 0xbb00, -v184
	v_mul_f16_e32 v88, 0xbb00, v88
	v_fma_f16 v97, v0, 0x39e0, -v97
	v_fma_f16 v0, v0, 0xb9e0, -v169
	;; [unrolled: 1-line block ×5, first 2 shown]
	v_fmac_f16_e64 v1, 0xb70e, v172
	v_add_f16_e64 v0, v0, v166
	v_fma_f16 v202, 0x2b26, v161, v170
	v_add_f16_e64 v94, v94, v167
	v_fmac_f16_e64 v88, 0xb70e, v178
	v_fma_f16 v203, 0xb574, v157, v184
	v_add_f16_e64 v97, v97, v166
	v_add_f16_e64 v157, v159, v167
	v_fmac_f16_e64 v160, 0xb70e, v172
	v_fmac_f16_e64 v89, 0xb70e, v178
	v_add_f16_e64 v159, v88, v0
	v_sub_f16_e64 v161, v94, v1
	v_sub_f16_e32 v0, v0, v88
	v_add_f16_e32 v1, v1, v94
	v_add_f16_e32 v94, v74, v90
	v_sub_f16_e32 v74, v74, v90
	v_pack_b32_f16 v159, v159, v161
	v_sub_f16_e64 v161, v97, v89
	v_add_f16_e32 v89, v89, v97
	v_sub_f16_e64 v97, v157, v160
	v_pack_b32_f16 v0, v0, v1
	v_add_f16_e32 v90, v85, v126
	v_add_f16_e64 v164, v160, v157
	v_sub_f16_e32 v85, v85, v126
	v_pack_b32_f16 v88, v89, v97
	v_add_f16_e32 v89, v86, v127
	v_sub_f16_e32 v86, v86, v127
	v_pack_b32_f16 v161, v161, v164
	v_fma_f16 v201, 0x2b26, v165, v169
	ds_store_2addr_b32 v51, v88, v0 offset0:16 offset1:20
	v_add_f16_e32 v88, v81, v95
	v_sub_f16_e32 v81, v81, v95
	v_add_f16_e32 v95, v79, v82
	v_sub_f16_e32 v79, v82, v79
	;; [unrolled: 2-line block ×4, first 2 shown]
	v_sub_f16_e32 v88, v88, v95
	v_sub_f16_e32 v94, v95, v94
	;; [unrolled: 1-line block ×3, first 2 shown]
	v_add_f16_e32 v84, v95, v84
	v_add_f16_e32 v95, v90, v89
	v_sub_f16_e32 v89, v89, v82
	v_sub_f16_e32 v90, v82, v90
	v_mul_f16_e32 v88, 0x3a52, v88
	v_mul_f16_e64 v160, 0x2b26, v94
	v_add_f16_e32 v82, v82, v95
	v_add_f16_e32 v95, v79, v74
	v_sub_f16_e32 v127, v79, v74
	v_sub_f16_e32 v74, v74, v81
	v_fmamk_f16 v94, v94, 0x2b26, v88
	v_fma_f16 v160, v97, 0x39e0, -v160
	v_fma_f16 v88, v97, 0xb9e0, -v88
	v_mul_f16_e32 v89, 0x3a52, v89
	v_mul_f16_e32 v97, 0x2b26, v90
	ds_store_2addr_b32 v51, v159, v161 offset0:8 offset1:12
	v_sub_f16_e32 v79, v81, v79
	v_add_f16_e32 v81, v95, v81
	v_add_f16_e32 v95, v83, v85
	v_sub_f16_e64 v157, v83, v85
	v_sub_f16_e32 v85, v85, v86
	v_add_f16_e64 v159, v208, v84
	v_fmamk_f16 v90, v90, 0x2b26, v89
	v_fma_f16 v97, v126, 0x39e0, -v97
	v_fma_f16 v89, v126, 0xb9e0, -v89
	v_mul_f16_e32 v126, 0x3846, v127
	v_mul_f16_e32 v127, 0xbb00, v74
	v_sub_f16_e32 v83, v86, v83
	v_add_f16_e32 v86, v95, v86
	v_lshrrev_b32_e32 v95, 16, v208
	v_fma_f16 v74, v74, 0xbb00, -v126
	v_fmamk_f16 v126, v79, 0xb574, v126
	v_fma_f16 v79, v79, 0x3574, -v127
	v_mul_f16_e64 v127, 0x3846, v157
	v_mul_f16_e64 v157, 0xbb00, v85
	v_fma_f16 v84, 0xbcab, v84, v159
	v_fmac_f16_e32 v74, 0xb70e, v81
	v_fmac_f16_e32 v79, 0xb70e, v81
	v_fma_f16 v85, v85, 0xbb00, -v127
	v_fmamk_f16 v127, v83, 0xb574, v127
	v_fma_f16 v83, v83, 0x3574, -v157
	v_add_f16_e32 v94, v94, v84
	v_add_f16_e64 v157, v160, v84
	v_add_f16_e32 v84, v88, v84
	v_add_f16_e32 v88, v95, v82
	v_fmac_f16_e32 v127, 0xb70e, v86
	v_fmac_f16_e32 v83, 0xb70e, v86
	;; [unrolled: 1-line block ×4, first 2 shown]
	v_fmamk_f16 v82, v82, 0xbcab, v88
	v_add_f16_e64 v201, v201, v166
	v_add_f16_e64 v202, v202, v167
	v_fmac_f16_e64 v203, 0xb70e, v178
	v_sub_f16_e64 v81, v157, v85
	v_add_f16_e32 v90, v90, v82
	v_add_f16_e32 v95, v97, v82
	;; [unrolled: 1-line block ×4, first 2 shown]
	v_sub_f16_e32 v83, v84, v83
	v_sub_f16_e32 v97, v94, v127
	v_add_f16_e32 v86, v74, v95
	v_sub_f16_e32 v84, v82, v79
	v_add_f16_e32 v79, v79, v82
	v_add_f16_e32 v82, v127, v94
	;; [unrolled: 1-line block ×3, first 2 shown]
	v_sub_f16_e32 v73, v73, v87
	v_add_f16_e32 v87, v77, v54
	v_sub_f16_e32 v54, v77, v54
	v_add_f16_e32 v77, v71, v64
	v_sub_f16_e32 v64, v71, v64
	v_add_f16_e32 v71, v76, v53
	v_sub_f16_e32 v53, v76, v53
	v_add_f16_e32 v76, v72, v78
	v_sub_f16_e32 v72, v78, v72
	v_add_f16_e32 v78, v75, v80
	v_sub_f16_e32 v75, v80, v75
	v_add_f16_e32 v80, v77, v94
	v_sub_f16_e32 v74, v95, v74
	v_sub_f16_e32 v95, v90, v126
	v_add_f16_e32 v90, v126, v90
	v_sub_f16_e32 v126, v77, v94
	v_sub_f16_e32 v94, v94, v76
	;; [unrolled: 1-line block ×3, first 2 shown]
	v_add_f16_e32 v76, v76, v80
	v_add_f16_e32 v80, v71, v87
	v_sub_f16_e32 v127, v71, v87
	v_sub_f16_e32 v87, v87, v78
	;; [unrolled: 1-line block ×3, first 2 shown]
	v_mul_f16_e32 v94, 0x3a52, v94
	v_add_f16_e32 v78, v78, v80
	v_add_f16_e32 v80, v72, v64
	v_mul_f16_e64 v161, 0x2b26, v77
	v_add_f16_e64 v85, v85, v157
	v_sub_f16_e64 v157, v72, v64
	v_sub_f16_e32 v72, v73, v72
	v_sub_f16_e32 v64, v64, v73
	v_add_f16_e32 v73, v80, v73
	v_add_f16_e32 v80, v75, v53
	v_fmamk_f16 v77, v77, 0x2b26, v94
	v_fma_f16 v161, v126, 0x39e0, -v161
	v_fma_f16 v94, v126, 0xb9e0, -v94
	v_mul_f16_e32 v87, 0x3a52, v87
	v_mul_f16_e32 v126, 0x2b26, v71
	v_sub_f16_e64 v160, v75, v53
	v_sub_f16_e32 v75, v54, v75
	v_sub_f16_e32 v53, v53, v54
	v_add_f16_e32 v54, v80, v54
	v_lshrrev_b32_e32 v80, 16, v63
	v_fmamk_f16 v71, v71, 0x2b26, v87
	v_fma_f16 v126, v127, 0x39e0, -v126
	v_fma_f16 v87, v127, 0xb9e0, -v87
	v_mul_f16_e64 v127, 0x3846, v157
	v_mul_f16_e64 v157, 0xbb00, v64
	v_add_f16_e32 v63, v63, v76
	v_add_f16_e32 v80, v80, v78
	v_fmac_f16_e64 v204, 0xb70e, v172
	v_fma_f16 v64, v64, 0xbb00, -v127
	v_fmamk_f16 v127, v72, 0xb574, v127
	v_fma_f16 v72, v72, 0x3574, -v157
	v_mul_f16_e64 v157, 0x3846, v160
	v_mul_f16_e64 v160, 0xbb00, v53
	v_fmamk_f16 v76, v76, 0xbcab, v63
	v_fmamk_f16 v78, v78, 0xbcab, v80
	v_add_f16_e64 v205, v203, v201
	v_fma_f16 v53, v53, 0xbb00, -v157
	v_fma_f16 v157, 0xb574, v75, v157
	v_fma_f16 v75, v75, 0x3574, -v160
	v_sub_f16_e64 v206, v202, v204
	v_sub_f16_e64 v0, v201, v203
	v_add_f16_e64 v1, v204, v202
	v_add_f16_e32 v77, v77, v76
	v_add_f16_e64 v160, v161, v76
	v_add_f16_e32 v76, v94, v76
	v_add_f16_e32 v71, v71, v78
	v_add_f16_e32 v94, v126, v78
	v_add_f16_e32 v78, v87, v78
	v_fmac_f16_e64 v157, 0xb70e, v54
	v_fmac_f16_e32 v75, 0xb70e, v54
	v_fmac_f16_e32 v64, 0xb70e, v73
	;; [unrolled: 1-line block ×5, first 2 shown]
	v_pack_b32_f16 v205, v205, v206
	v_pack_b32_f16 v0, v0, v1
	v_add_f16_e32 v73, v64, v94
	v_sub_f16_e32 v64, v94, v64
	v_add_f16_e32 v87, v75, v76
	v_sub_f16_e32 v75, v76, v75
	v_sub_f16_e32 v76, v78, v72
	v_add_f16_e32 v72, v72, v78
	v_add_f16_e64 v78, v157, v77
	v_sub_f16_e64 v94, v77, v157
	v_pack_b32_f16 v1, v159, v88
	v_pack_b32_f16 v77, v82, v95
	;; [unrolled: 1-line block ×3, first 2 shown]
	v_sub_f16_e32 v83, v71, v127
	v_sub_f16_e64 v54, v160, v53
	v_pack_b32_f16 v82, v89, v84
	v_pack_b32_f16 v81, v81, v86
	v_add_f16_e64 v53, v53, v160
	v_pack_b32_f16 v74, v85, v74
	v_add_f16_e32 v95, v127, v71
	ds_store_2addr_b32 v51, v168, v205 offset1:4
	ds_store_b32 v51, v0 offset:96
	ds_store_2addr_b32 v162, v1, v77 offset1:4
	ds_store_2addr_b32 v162, v82, v81 offset0:8 offset1:12
	ds_store_2addr_b32 v162, v74, v79 offset0:16 offset1:20
	v_pack_b32_f16 v0, v97, v90
	v_pack_b32_f16 v1, v63, v80
	;; [unrolled: 1-line block ×8, first 2 shown]
	ds_store_b32 v162, v0 offset:96
	ds_store_2addr_b32 v163, v1, v51 offset1:4
	ds_store_2addr_b32 v163, v63, v54 offset0:8 offset1:12
	ds_store_2addr_b32 v163, v53, v64 offset0:16 offset1:20
	ds_store_b32 v163, v71 offset:96
	v_add_nc_u32_e32 v51, 0x1600, v96
	global_wb scope:SCOPE_SE
	s_wait_dscnt 0x0
	s_barrier_signal -1
	s_barrier_wait -1
	global_inv scope:SCOPE_SE
	ds_load_2addr_b32 v[89:90], v96 offset1:56
	ds_load_2addr_b32 v[0:1], v68 offset0:128 offset1:212
	ds_load_2addr_b32 v[87:88], v69 offset0:12 offset1:68
	;; [unrolled: 1-line block ×16, first 2 shown]
	s_and_saveexec_b32 s1, s0
	s_cbranch_execz .LBB0_21
; %bb.20:
	ds_load_b32 v94, v96 offset:3808
	ds_load_b32 v91, v96 offset:7728
	s_wait_dscnt 0x1
	v_lshrrev_b32_e32 v95, 16, v94
	s_wait_dscnt 0x0
	v_lshrrev_b32_e32 v92, 16, v91
.LBB0_21:
	s_wait_alu 0xfffe
	s_or_b32 exec_lo, exec_lo, s1
	s_wait_dscnt 0xf
	v_lshrrev_b32_e32 v51, 16, v1
	v_lshrrev_b32_e32 v97, 16, v200
	global_wb scope:SCOPE_SE
	s_wait_dscnt 0x0
	s_barrier_signal -1
	s_barrier_wait -1
	global_inv scope:SCOPE_SE
	v_mul_f16_e32 v93, v97, v1
	v_mul_f16_e32 v97, v97, v51
	s_delay_alu instid0(VALU_DEP_2) | instskip(NEXT) | instid1(VALU_DEP_2)
	v_fma_f16 v51, v200, v51, -v93
	v_fmac_f16_e64 v97, v200, v1
	v_lshrrev_b32_e32 v1, 16, v89
	s_delay_alu instid0(VALU_DEP_2) | instskip(NEXT) | instid1(VALU_DEP_2)
	v_sub_f16_e32 v93, v89, v97
	v_sub_f16_e32 v51, v1, v51
	s_delay_alu instid0(VALU_DEP_2) | instskip(NEXT) | instid1(VALU_DEP_2)
	v_fma_f16 v89, v89, 2.0, -v93
	v_fma_f16 v1, v1, 2.0, -v51
	v_pack_b32_f16 v51, v93, v51
	v_lshrrev_b32_e32 v93, 16, v0
	s_delay_alu instid0(VALU_DEP_3)
	v_pack_b32_f16 v1, v89, v1
	scratch_load_b32 v89, off, off offset:12 th:TH_LOAD_LU ; 4-byte Folded Reload
	s_wait_loadcnt 0x0
	ds_store_2addr_b32 v89, v1, v51 offset1:28
	v_lshrrev_b32_e32 v1, 16, v87
	v_lshrrev_b32_e32 v89, 16, v199
	s_delay_alu instid0(VALU_DEP_1) | instskip(NEXT) | instid1(VALU_DEP_3)
	v_mul_f16_e32 v51, v89, v87
	v_mul_f16_e32 v89, v89, v1
	s_delay_alu instid0(VALU_DEP_2) | instskip(NEXT) | instid1(VALU_DEP_2)
	v_fma_f16 v1, v199, v1, -v51
	v_fmac_f16_e64 v89, v199, v87
	v_lshrrev_b32_e32 v87, 16, v90
	s_delay_alu instid0(VALU_DEP_2) | instskip(NEXT) | instid1(VALU_DEP_2)
	v_sub_f16_e32 v51, v90, v89
	v_sub_f16_e32 v1, v87, v1
	s_delay_alu instid0(VALU_DEP_2) | instskip(NEXT) | instid1(VALU_DEP_2)
	v_fma_f16 v89, v90, 2.0, -v51
	v_fma_f16 v87, v87, 2.0, -v1
	v_pack_b32_f16 v1, v51, v1
	v_lshrrev_b32_e32 v90, 16, v3
	s_delay_alu instid0(VALU_DEP_3)
	v_pack_b32_f16 v51, v89, v87
	scratch_load_b32 v87, off, off offset:16 th:TH_LOAD_LU ; 4-byte Folded Reload
	v_lshrrev_b32_e32 v89, 16, v2
	s_wait_loadcnt 0x0
	ds_store_2addr_b32 v87, v51, v1 offset1:28
	v_lshrrev_b32_e32 v1, 16, v88
	v_lshrrev_b32_e32 v87, 16, v198
	s_delay_alu instid0(VALU_DEP_1) | instskip(SKIP_1) | instid1(VALU_DEP_2)
	v_mul_f16_e32 v51, v87, v1
	v_mul_f16_e32 v87, v87, v88
	v_fmac_f16_e64 v51, v198, v88
	s_delay_alu instid0(VALU_DEP_2) | instskip(SKIP_2) | instid1(VALU_DEP_4)
	v_fma_f16 v1, v198, v1, -v87
	v_lshrrev_b32_e32 v87, 16, v85
	v_lshrrev_b32_e32 v88, 16, v54
	v_sub_f16_e32 v51, v85, v51
	s_delay_alu instid0(VALU_DEP_3) | instskip(NEXT) | instid1(VALU_DEP_2)
	v_sub_f16_e32 v1, v87, v1
	v_fma_f16 v85, v85, 2.0, -v51
	s_delay_alu instid0(VALU_DEP_2)
	v_fma_f16 v87, v87, 2.0, -v1
	v_pack_b32_f16 v1, v51, v1
	scratch_load_b32 v51, off, off offset:32 th:TH_LOAD_LU ; 4-byte Folded Reload
	v_pack_b32_f16 v85, v85, v87
	v_lshrrev_b32_e32 v87, 16, v53
	s_wait_loadcnt 0x0
	ds_store_2addr_b32 v51, v85, v1 offset1:28
	v_lshrrev_b32_e32 v1, 16, v83
	v_lshrrev_b32_e32 v85, 16, v197
	s_delay_alu instid0(VALU_DEP_1) | instskip(NEXT) | instid1(VALU_DEP_3)
	v_mul_f16_e32 v51, v85, v83
	v_mul_f16_e32 v85, v85, v1
	s_delay_alu instid0(VALU_DEP_2) | instskip(NEXT) | instid1(VALU_DEP_2)
	v_fma_f16 v1, v197, v1, -v51
	v_fmac_f16_e64 v85, v197, v83
	v_lshrrev_b32_e32 v83, 16, v86
	s_delay_alu instid0(VALU_DEP_2) | instskip(NEXT) | instid1(VALU_DEP_2)
	v_sub_f16_e32 v51, v86, v85
	v_sub_f16_e32 v1, v83, v1
	s_delay_alu instid0(VALU_DEP_2) | instskip(NEXT) | instid1(VALU_DEP_2)
	v_fma_f16 v85, v86, 2.0, -v51
	v_fma_f16 v83, v83, 2.0, -v1
	v_pack_b32_f16 v1, v51, v1
	scratch_load_b32 v51, off, off offset:28 th:TH_LOAD_LU ; 4-byte Folded Reload
	v_lshrrev_b32_e32 v86, 16, v183
	v_pack_b32_f16 v83, v85, v83
	s_wait_loadcnt 0x0
	ds_store_2addr_b32 v51, v83, v1 offset1:28
	v_lshrrev_b32_e32 v1, 16, v84
	v_lshrrev_b32_e32 v83, 16, v195
	s_delay_alu instid0(VALU_DEP_1) | instskip(SKIP_1) | instid1(VALU_DEP_2)
	v_mul_f16_e32 v51, v83, v1
	v_mul_f16_e32 v83, v83, v84
	v_fmac_f16_e64 v51, v195, v84
	s_delay_alu instid0(VALU_DEP_2) | instskip(SKIP_2) | instid1(VALU_DEP_4)
	v_fma_f16 v1, v195, v1, -v83
	v_lshrrev_b32_e32 v83, 16, v81
	v_lshrrev_b32_e32 v84, 16, v185
	v_sub_f16_e32 v51, v81, v51
	s_delay_alu instid0(VALU_DEP_3) | instskip(NEXT) | instid1(VALU_DEP_2)
	v_sub_f16_e32 v1, v83, v1
	v_fma_f16 v81, v81, 2.0, -v51
	s_delay_alu instid0(VALU_DEP_2)
	v_fma_f16 v83, v83, 2.0, -v1
	v_pack_b32_f16 v1, v51, v1
	scratch_load_b32 v51, off, off offset:36 th:TH_LOAD_LU ; 4-byte Folded Reload
	v_pack_b32_f16 v81, v81, v83
	v_lshrrev_b32_e32 v83, 16, v186
	s_wait_loadcnt 0x0
	ds_store_2addr_b32 v51, v81, v1 offset1:28
	v_lshrrev_b32_e32 v1, 16, v79
	v_lshrrev_b32_e32 v81, 16, v196
	s_delay_alu instid0(VALU_DEP_1) | instskip(NEXT) | instid1(VALU_DEP_3)
	v_mul_f16_e32 v51, v81, v79
	v_mul_f16_e32 v81, v81, v1
	s_delay_alu instid0(VALU_DEP_2) | instskip(NEXT) | instid1(VALU_DEP_2)
	v_fma_f16 v1, v196, v1, -v51
	v_fmac_f16_e64 v81, v196, v79
	v_lshrrev_b32_e32 v79, 16, v82
	s_delay_alu instid0(VALU_DEP_2) | instskip(NEXT) | instid1(VALU_DEP_2)
	v_sub_f16_e32 v51, v82, v81
	v_sub_f16_e32 v1, v79, v1
	s_delay_alu instid0(VALU_DEP_2) | instskip(NEXT) | instid1(VALU_DEP_2)
	v_fma_f16 v81, v82, 2.0, -v51
	v_fma_f16 v79, v79, 2.0, -v1
	v_pack_b32_f16 v1, v51, v1
	scratch_load_b32 v51, off, off offset:48 th:TH_LOAD_LU ; 4-byte Folded Reload
	v_lshrrev_b32_e32 v82, 16, v187
	v_pack_b32_f16 v79, v81, v79
	v_lshrrev_b32_e32 v81, 16, v70
	s_wait_loadcnt 0x0
	ds_store_2addr_b32 v51, v79, v1 offset1:28
	v_lshrrev_b32_e32 v1, 16, v80
	v_lshrrev_b32_e32 v79, 16, v192
	s_delay_alu instid0(VALU_DEP_1) | instskip(SKIP_1) | instid1(VALU_DEP_2)
	v_mul_f16_e32 v51, v79, v1
	v_mul_f16_e32 v79, v79, v80
	v_fmac_f16_e64 v51, v192, v80
	s_delay_alu instid0(VALU_DEP_2) | instskip(SKIP_2) | instid1(VALU_DEP_4)
	v_fma_f16 v1, v192, v1, -v79
	v_lshrrev_b32_e32 v79, 16, v77
	v_lshrrev_b32_e32 v80, 16, v189
	v_sub_f16_e32 v51, v77, v51
	s_delay_alu instid0(VALU_DEP_3) | instskip(NEXT) | instid1(VALU_DEP_2)
	v_sub_f16_e32 v1, v79, v1
	v_fma_f16 v77, v77, 2.0, -v51
	s_delay_alu instid0(VALU_DEP_2)
	v_fma_f16 v79, v79, 2.0, -v1
	v_pack_b32_f16 v1, v51, v1
	scratch_load_b32 v51, off, off offset:56 th:TH_LOAD_LU ; 4-byte Folded Reload
	v_pack_b32_f16 v77, v77, v79
	v_lshrrev_b32_e32 v79, 16, v190
	s_wait_loadcnt 0x0
	ds_store_2addr_b32 v51, v77, v1 offset1:28
	v_lshrrev_b32_e32 v1, 16, v75
	v_lshrrev_b32_e32 v77, 16, v188
	s_delay_alu instid0(VALU_DEP_1) | instskip(NEXT) | instid1(VALU_DEP_3)
	v_mul_f16_e32 v51, v77, v75
	v_mul_f16_e32 v77, v77, v1
	s_delay_alu instid0(VALU_DEP_2) | instskip(NEXT) | instid1(VALU_DEP_2)
	v_fma_f16 v1, v188, v1, -v51
	v_fmac_f16_e64 v77, v188, v75
	v_lshrrev_b32_e32 v75, 16, v78
	s_delay_alu instid0(VALU_DEP_2) | instskip(NEXT) | instid1(VALU_DEP_2)
	v_sub_f16_e32 v51, v78, v77
	v_sub_f16_e32 v1, v75, v1
	s_delay_alu instid0(VALU_DEP_2) | instskip(NEXT) | instid1(VALU_DEP_2)
	v_fma_f16 v77, v78, 2.0, -v51
	v_fma_f16 v75, v75, 2.0, -v1
	v_pack_b32_f16 v1, v51, v1
	scratch_load_b32 v51, off, off offset:60 th:TH_LOAD_LU ; 4-byte Folded Reload
	v_lshrrev_b32_e32 v78, 16, v191
	v_pack_b32_f16 v75, v77, v75
	v_lshrrev_b32_e32 v77, 16, v193
	s_wait_loadcnt 0x0
	ds_store_2addr_b32 v51, v75, v1 offset1:28
	v_lshrrev_b32_e32 v1, 16, v76
	v_lshrrev_b32_e32 v75, 16, v194
	s_delay_alu instid0(VALU_DEP_1) | instskip(SKIP_1) | instid1(VALU_DEP_2)
	v_mul_f16_e32 v51, v75, v1
	v_mul_f16_e32 v75, v75, v76
	v_fmac_f16_e64 v51, v194, v76
	s_delay_alu instid0(VALU_DEP_2) | instskip(SKIP_2) | instid1(VALU_DEP_4)
	v_fma_f16 v1, v194, v1, -v75
	v_lshrrev_b32_e32 v75, 16, v73
	v_mul_f16_e32 v76, v77, v73
	v_sub_f16_e32 v51, v65, v51
	s_delay_alu instid0(VALU_DEP_3) | instskip(NEXT) | instid1(VALU_DEP_3)
	v_mul_f16_e32 v77, v77, v75
	v_fma_f16 v75, v193, v75, -v76
	s_delay_alu instid0(VALU_DEP_2) | instskip(SKIP_1) | instid1(VALU_DEP_1)
	v_fmac_f16_e64 v77, v193, v73
	v_lshrrev_b32_e32 v73, 16, v74
	v_mul_f16_e32 v76, v78, v73
	v_mul_f16_e32 v78, v78, v74
	s_delay_alu instid0(VALU_DEP_2) | instskip(SKIP_1) | instid1(VALU_DEP_3)
	v_fmac_f16_e64 v76, v191, v74
	v_lshrrev_b32_e32 v74, 16, v71
	v_fma_f16 v73, v191, v73, -v78
	v_mul_f16_e32 v78, v79, v71
	s_delay_alu instid0(VALU_DEP_4) | instskip(NEXT) | instid1(VALU_DEP_4)
	v_sub_f16_e32 v76, v63, v76
	v_mul_f16_e32 v79, v79, v74
	s_delay_alu instid0(VALU_DEP_3) | instskip(NEXT) | instid1(VALU_DEP_2)
	v_fma_f16 v74, v190, v74, -v78
	v_fmac_f16_e64 v79, v190, v71
	v_lshrrev_b32_e32 v71, 16, v72
	s_delay_alu instid0(VALU_DEP_2) | instskip(NEXT) | instid1(VALU_DEP_2)
	v_sub_f16_e32 v79, v64, v79
	v_mul_f16_e32 v78, v80, v71
	v_mul_f16_e32 v80, v80, v72
	s_delay_alu instid0(VALU_DEP_2) | instskip(SKIP_1) | instid1(VALU_DEP_3)
	v_fmac_f16_e64 v78, v189, v72
	v_lshrrev_b32_e32 v72, 16, v69
	v_fma_f16 v71, v189, v71, -v80
	v_mul_f16_e32 v80, v82, v69
	s_delay_alu instid0(VALU_DEP_4) | instskip(NEXT) | instid1(VALU_DEP_4)
	v_sub_f16_e32 v78, v53, v78
	v_mul_f16_e32 v82, v82, v72
	s_delay_alu instid0(VALU_DEP_4) | instskip(NEXT) | instid1(VALU_DEP_4)
	v_sub_f16_e32 v71, v87, v71
	v_fma_f16 v72, v187, v72, -v80
	v_mul_f16_e32 v80, v83, v81
	v_fma_f16 v53, v53, 2.0, -v78
	v_fmac_f16_e64 v82, v187, v69
	v_mul_f16_e32 v69, v83, v70
	v_lshrrev_b32_e32 v83, 16, v68
	v_fmac_f16_e64 v80, v186, v70
	v_lshrrev_b32_e32 v70, 16, v67
	v_sub_f16_e32 v82, v54, v82
	v_fma_f16 v69, v186, v81, -v69
	v_mul_f16_e32 v85, v86, v83
	v_mul_f16_e32 v81, v84, v67
	;; [unrolled: 1-line block ×4, first 2 shown]
	v_sub_f16_e32 v72, v88, v72
	v_fmac_f16_e64 v85, v183, v68
	v_sub_f16_e32 v68, v66, v77
	v_lshrrev_b32_e32 v77, 16, v65
	v_fma_f16 v70, v185, v70, -v81
	v_fmac_f16_e64 v84, v185, v67
	v_fma_f16 v67, v183, v83, -v86
	v_lshrrev_b32_e32 v81, 16, v66
	v_lshrrev_b32_e32 v83, 16, v63
	v_sub_f16_e32 v1, v77, v1
	v_fma_f16 v65, v65, 2.0, -v51
	v_fma_f16 v63, v63, 2.0, -v76
	v_sub_f16_e32 v75, v81, v75
	v_sub_f16_e32 v73, v83, v73
	v_fma_f16 v77, v77, 2.0, -v1
	v_pack_b32_f16 v1, v51, v1
	v_fma_f16 v66, v66, 2.0, -v68
	v_pack_b32_f16 v68, v68, v75
	v_lshrrev_b32_e32 v86, 16, v64
	v_pack_b32_f16 v65, v65, v77
	v_fma_f16 v77, v81, 2.0, -v75
	v_fma_f16 v81, v83, 2.0, -v73
	v_pack_b32_f16 v73, v76, v73
	v_sub_f16_e32 v74, v86, v74
	v_fma_f16 v64, v64, 2.0, -v79
	v_pack_b32_f16 v66, v66, v77
	v_pack_b32_f16 v63, v63, v81
	scratch_load_b32 v81, off, off offset:20 th:TH_LOAD_LU ; 4-byte Folded Reload
	v_fma_f16 v51, v86, 2.0, -v74
	v_fma_f16 v54, v54, 2.0, -v82
	;; [unrolled: 1-line block ×3, first 2 shown]
	v_sub_f16_e32 v80, v2, v80
	v_sub_f16_e32 v69, v89, v69
	v_pack_b32_f16 v51, v64, v51
	v_pack_b32_f16 v64, v79, v74
	v_fma_f16 v74, v87, 2.0, -v71
	v_fma_f16 v2, v2, 2.0, -v80
	;; [unrolled: 1-line block ×3, first 2 shown]
	v_sub_f16_e32 v84, v3, v84
	v_sub_f16_e32 v70, v90, v70
	;; [unrolled: 1-line block ×4, first 2 shown]
	v_pack_b32_f16 v2, v2, v76
	v_fma_f16 v3, v3, 2.0, -v84
	v_fma_f16 v77, v90, 2.0, -v70
	;; [unrolled: 1-line block ×4, first 2 shown]
	s_delay_alu instid0(VALU_DEP_3) | instskip(NEXT) | instid1(VALU_DEP_2)
	v_pack_b32_f16 v3, v3, v77
	v_pack_b32_f16 v0, v0, v79
	s_wait_loadcnt 0x0
	ds_store_2addr_b32 v81, v65, v1 offset1:28
	scratch_load_b32 v1, off, off offset:24 th:TH_LOAD_LU ; 4-byte Folded Reload
	v_pack_b32_f16 v65, v85, v67
	s_wait_loadcnt 0x0
	ds_store_2addr_b32 v1, v66, v68 offset1:28
	s_clause 0x1
	scratch_load_b32 v1, off, off offset:40 th:TH_LOAD_LU
	scratch_load_b32 v66, off, off offset:52 th:TH_LOAD_LU
	s_wait_loadcnt 0x1
	ds_store_2addr_b32 v1, v63, v73 offset1:28
	scratch_load_b32 v1, off, off offset:44 th:TH_LOAD_LU ; 4-byte Folded Reload
	v_pack_b32_f16 v63, v80, v69
	s_wait_loadcnt 0x0
	ds_store_2addr_b32 v1, v51, v64 offset1:28
	v_pack_b32_f16 v1, v53, v74
	v_pack_b32_f16 v51, v78, v71
	;; [unrolled: 1-line block ×5, first 2 shown]
	ds_store_2addr_b32 v66, v1, v51 offset1:28
	scratch_load_b32 v1, off, off offset:64 th:TH_LOAD_LU ; 4-byte Folded Reload
	s_wait_loadcnt 0x0
	ds_store_2addr_b32 v1, v53, v54 offset1:28
	scratch_load_b32 v1, off, off offset:68 th:TH_LOAD_LU ; 4-byte Folded Reload
	s_wait_loadcnt 0x0
	;; [unrolled: 3-line block ×4, first 2 shown]
	ds_store_2addr_b32 v1, v0, v65 offset1:28
	s_and_saveexec_b32 s1, s0
	s_cbranch_execz .LBB0_23
; %bb.22:
	v_lshrrev_b32_e32 v1, 16, v176
	s_delay_alu instid0(VALU_DEP_1) | instskip(SKIP_1) | instid1(VALU_DEP_2)
	v_mul_f16_e32 v0, v1, v92
	v_mul_f16_e32 v1, v1, v91
	v_fmac_f16_e64 v0, v176, v91
	s_delay_alu instid0(VALU_DEP_2) | instskip(NEXT) | instid1(VALU_DEP_2)
	v_fma_f16 v1, v176, v92, -v1
	v_sub_f16_e32 v0, v94, v0
	s_delay_alu instid0(VALU_DEP_2) | instskip(NEXT) | instid1(VALU_DEP_2)
	v_sub_f16_e32 v1, v95, v1
	v_fma_f16 v2, v94, 2.0, -v0
	s_delay_alu instid0(VALU_DEP_2) | instskip(SKIP_1) | instid1(VALU_DEP_2)
	v_fma_f16 v3, v95, 2.0, -v1
	v_pack_b32_f16 v0, v0, v1
	v_pack_b32_f16 v1, v2, v3
	scratch_load_b32 v2, off, off offset:8 th:TH_LOAD_LU ; 4-byte Folded Reload
	s_wait_loadcnt 0x0
	v_add_nc_u32_e32 v2, 0x1c00, v2
	ds_store_2addr_b32 v2, v1, v0 offset0:112 offset1:140
.LBB0_23:
	s_wait_alu 0xfffe
	s_or_b32 exec_lo, exec_lo, s1
	v_add_nc_u32_e32 v66, 0x200, v96
	v_add_nc_u32_e32 v67, 0x800, v96
	global_wb scope:SCOPE_SE
	s_wait_dscnt 0x0
	s_barrier_signal -1
	s_barrier_wait -1
	global_inv scope:SCOPE_SE
	ds_load_2addr_b32 v[72:73], v96 offset1:56
	v_add_nc_u32_e32 v54, 0xc00, v96
	ds_load_2addr_b32 v[0:1], v66 offset0:96 offset1:152
	ds_load_2addr_b32 v[74:75], v67 offset0:48 offset1:104
	v_add_nc_u32_e32 v65, 0x1000, v96
	v_add_nc_u32_e32 v53, 0x1400, v96
	;; [unrolled: 1-line block ×4, first 2 shown]
	ds_load_2addr_b32 v[76:77], v54 offset0:16 offset1:72
	ds_load_2addr_b32 v[78:79], v65 offset0:96 offset1:152
	ds_load_2addr_b32 v[80:81], v53 offset0:64 offset1:120
	ds_load_2addr_b32 v[82:83], v64 offset0:144 offset1:200
	ds_load_2addr_b32 v[2:3], v96 offset0:112 offset1:168
	ds_load_2addr_b32 v[84:85], v63 offset0:80 offset1:136
	ds_load_2addr_b32 v[86:87], v54 offset0:128 offset1:184
	ds_load_2addr_b32 v[88:89], v53 offset0:176 offset1:232
	v_add_nc_u32_e32 v69, 0x1200, v96
	v_add_nc_u32_e32 v51, 0x1c00, v96
	ds_load_2addr_b32 v[90:91], v67 offset0:160 offset1:216
	v_add_nc_u32_e32 v68, 0xe00, v96
	ds_load_2addr_b32 v[126:127], v63 offset0:192 offset1:248
	ds_load_2addr_b32 v[92:93], v69 offset0:80 offset1:136
	ds_load_2addr_b32 v[94:95], v51 offset1:56
	ds_load_2addr_b32 v[161:162], v64 offset0:32 offset1:88
	ds_load_2addr_b32 v[159:160], v68 offset0:112 offset1:168
	s_wait_dscnt 0x10
	v_lshrrev_b32_e32 v97, 16, v72
	s_wait_dscnt 0xf
	v_lshrrev_b32_e32 v157, 16, v1
	;; [unrolled: 2-line block ×3, first 2 shown]
	v_mul_f16_e64 v195, v237, v1
	v_mul_f16_e64 v197, v238, v74
	v_lshrrev_b32_e32 v170, 16, v75
	v_mul_f16_e64 v198, v237, v157
	v_mul_f16_e64 v199, v238, v163
	s_wait_dscnt 0xc
	v_lshrrev_b32_e32 v165, 16, v78
	s_wait_dscnt 0x8
	v_lshrrev_b32_e32 v169, 16, v84
	v_fma_f16 v157, v4, v157, -v195
	v_mul_f16_e64 v195, v237, v84
	v_fma_f16 v163, v5, v163, -v197
	v_mul_f16_e64 v197, v240, v78
	v_lshrrev_b32_e32 v174, 16, v79
	v_mul_f16_e64 v200, v237, v169
	v_fma_f16 v169, v4, v169, -v195
	v_mul_f16_e64 v195, v238, v170
	v_fmac_f16_e64 v199, v5, v74
	v_fma_f16 v74, v7, v165, -v197
	v_mul_f16_e64 v197, v238, v75
	v_lshrrev_b32_e32 v164, 16, v77
	s_wait_dscnt 0x7
	v_lshrrev_b32_e32 v172, 16, v86
	v_mul_f16_e64 v165, v240, v165
	v_fmac_f16_e64 v195, v5, v75
	v_mul_f16_e64 v75, v240, v174
	v_fma_f16 v5, v5, v170, -v197
	v_mul_f16_e64 v170, v239, v77
	v_lshrrev_b32_e32 v167, 16, v82
	v_lshrrev_b32_e32 v178, 16, v83
	v_fmac_f16_e64 v165, v7, v78
	v_fmac_f16_e32 v75, v7, v79
	v_mul_f16_e64 v78, v240, v79
	v_mul_f16_e64 v79, v239, v86
	v_fma_f16 v170, v6, v164, -v170
	v_mul_f16_e64 v164, v239, v164
	v_mul_f16_e64 v202, v239, v172
	v_lshrrev_b32_e32 v166, 16, v81
	s_wait_dscnt 0x6
	v_lshrrev_b32_e32 v176, 16, v88
	v_lshrrev_b32_e32 v184, 16, v85
	v_fma_f16 v79, v6, v172, -v79
	v_fmac_f16_e64 v198, v4, v1
	v_fmac_f16_e64 v164, v6, v77
	v_fma_f16 v1, v7, v174, -v78
	v_mul_f16_e64 v7, v235, v82
	v_fmac_f16_e64 v200, v4, v84
	v_fmac_f16_e64 v202, v6, v86
	v_mul_f16_e64 v6, v235, v167
	v_mul_f16_e64 v77, v235, v178
	;; [unrolled: 1-line block ×3, first 2 shown]
	s_wait_dscnt 0x5
	v_lshrrev_b32_e32 v185, 16, v90
	v_lshrrev_b32_e32 v186, 16, v87
	v_fma_f16 v7, v56, v167, -v7
	v_fmac_f16_e32 v6, v56, v82
	v_fmac_f16_e32 v77, v56, v83
	v_mul_f16_e64 v82, v235, v83
	v_mul_f16_e64 v83, v236, v88
	v_fma_f16 v84, v55, v166, -v84
	v_mul_f16_e64 v166, v236, v166
	v_mul_f16_e64 v167, v236, v176
	;; [unrolled: 1-line block ×3, first 2 shown]
	s_wait_dscnt 0x3
	v_lshrrev_b32_e32 v187, 16, v92
	v_lshrrev_b32_e32 v188, 16, v89
	s_wait_dscnt 0x2
	v_lshrrev_b32_e32 v189, 16, v94
	v_fma_f16 v83, v55, v176, -v83
	v_fmac_f16_e64 v166, v55, v81
	v_fmac_f16_e64 v167, v55, v88
	;; [unrolled: 1-line block ×3, first 2 shown]
	v_mul_f16_e64 v55, v252, v85
	v_mul_f16_e64 v81, v255, v185
	;; [unrolled: 1-line block ×5, first 2 shown]
	v_lshrrev_b32_e32 v190, 16, v126
	v_lshrrev_b32_e32 v191, 16, v91
	ds_load_b32 v172, v96 offset:7616
	v_fma_f16 v16, v16, v184, -v55
	v_fmac_f16_e32 v81, v17, v90
	v_fma_f16 v17, v17, v185, -v85
	v_fmac_f16_e32 v88, v18, v87
	v_fma_f16 v18, v18, v186, -v176
	v_mul_f16_e64 v55, v254, v187
	v_mul_f16_e64 v85, v254, v92
	;; [unrolled: 1-line block ×5, first 2 shown]
	s_wait_dscnt 0x1
	v_lshrrev_b32_e32 v192, 16, v159
	v_lshrrev_b32_e32 v193, 16, v93
	v_fmac_f16_e32 v55, v19, v92
	v_fma_f16 v19, v19, v187, -v85
	v_fmac_f16_e32 v87, v61, v89
	v_fma_f16 v61, v61, v188, -v90
	v_fmac_f16_e64 v176, v62, v94
	v_mul_f16_e64 v85, v249, v94
	v_mul_f16_e64 v89, v105, v190
	v_mul_f16_e32 v90, v105, v126
	v_mul_f16_e64 v92, v101, v191
	v_mul_f16_e32 v94, v101, v91
	v_lshrrev_b32_e32 v194, 16, v161
	v_lshrrev_b32_e32 v196, 16, v95
	;; [unrolled: 1-line block ×3, first 2 shown]
	v_fma_f16 v62, v62, v189, -v85
	v_fmac_f16_e32 v89, v12, v126
	v_fma_f16 v12, v12, v190, -v90
	v_fmac_f16_e32 v92, v13, v91
	v_fma_f16 v13, v13, v191, -v94
	v_mul_f16_e64 v85, v107, v192
	v_mul_f16_e64 v90, v107, v159
	;; [unrolled: 1-line block ×3, first 2 shown]
	v_mul_f16_e32 v94, v99, v93
	v_lshrrev_b32_e32 v197, 16, v76
	v_lshrrev_b32_e32 v4, 16, v160
	;; [unrolled: 1-line block ×3, first 2 shown]
	v_mul_f16_e64 v99, v103, v194
	v_fmac_f16_e64 v85, v14, v159
	v_fma_f16 v14, v14, v192, -v90
	v_fmac_f16_e32 v91, v15, v93
	v_fma_f16 v15, v15, v193, -v94
	v_mul_f16_e64 v90, v103, v161
	v_mul_f16_e64 v93, v180, v196
	;; [unrolled: 1-line block ×4, first 2 shown]
	v_mul_f16_e32 v103, v119, v127
	v_lshrrev_b32_e32 v86, 16, v162
	v_fma_f16 v56, v56, v178, -v82
	s_wait_dscnt 0x0
	v_lshrrev_b32_e32 v82, 16, v172
	v_fmac_f16_e64 v99, v59, v161
	v_fma_f16 v59, v59, v194, -v90
	v_fmac_f16_e32 v93, v60, v95
	v_fma_f16 v60, v60, v196, -v94
	v_fmac_f16_e32 v101, v8, v127
	v_fma_f16 v8, v8, v201, -v103
	v_mul_f16_e64 v90, v115, v197
	v_mul_f16_e32 v94, v115, v76
	v_mul_f16_e32 v95, v118, v4
	v_mul_f16_e64 v103, v118, v160
	v_mul_f16_e32 v105, v109, v78
	v_fmac_f16_e32 v90, v9, v76
	v_fma_f16 v9, v9, v197, -v94
	v_fmac_f16_e64 v95, v10, v160
	v_fma_f16 v4, v10, v4, -v103
	v_fmac_f16_e32 v105, v11, v80
	v_mul_f16_e32 v10, v109, v80
	v_mul_f16_e32 v76, v111, v86
	v_mul_f16_e64 v80, v111, v162
	v_mul_f16_e32 v94, v113, v82
	v_mul_f16_e64 v103, v113, v172
	v_fma_f16 v10, v11, v78, -v10
	v_fmac_f16_e64 v76, v57, v162
	v_fma_f16 v11, v57, v86, -v80
	v_fmac_f16_e64 v94, v58, v172
	v_fma_f16 v57, v58, v82, -v103
	v_add_f16_e64 v58, v198, v6
	v_add_f16_e64 v78, v157, v7
	;; [unrolled: 1-line block ×4, first 2 shown]
	v_sub_f16_e64 v6, v198, v6
	v_sub_f16_e64 v7, v157, v7
	;; [unrolled: 1-line block ×4, first 2 shown]
	v_add_f16_e64 v103, v164, v165
	v_add_f16_e64 v107, v170, v74
	v_sub_f16_e64 v109, v165, v164
	v_sub_f16_e64 v74, v74, v170
	v_add_f16_e32 v111, v80, v58
	v_add_f16_e32 v113, v82, v78
	v_sub_f16_e32 v115, v80, v58
	v_sub_f16_e32 v118, v82, v78
	v_sub_f16_e32 v58, v58, v103
	v_sub_f16_e32 v78, v78, v107
	v_sub_f16_e32 v80, v103, v80
	v_sub_f16_e32 v82, v107, v82
	v_add_f16_e32 v119, v109, v86
	v_add_f16_e32 v126, v74, v84
	v_sub_f16_e32 v127, v109, v86
	v_sub_f16_e64 v157, v74, v84
	v_sub_f16_e32 v86, v86, v6
	v_add_f16_e32 v103, v103, v111
	v_add_f16_e32 v107, v107, v113
	v_sub_f16_e32 v84, v84, v7
	v_sub_f16_e32 v109, v6, v109
	;; [unrolled: 1-line block ×3, first 2 shown]
	v_add_f16_e32 v6, v119, v6
	v_add_f16_e32 v7, v126, v7
	;; [unrolled: 1-line block ×4, first 2 shown]
	v_mul_f16_e32 v58, 0x3a52, v58
	v_mul_f16_e32 v78, 0x3a52, v78
	;; [unrolled: 1-line block ×5, first 2 shown]
	v_mul_f16_e64 v126, 0x3846, v157
	v_mul_f16_e32 v127, 0xbb00, v86
	v_mul_f16_e64 v157, 0xbb00, v84
	v_fmamk_f16 v103, v103, 0xbcab, v72
	v_fmamk_f16 v107, v107, 0xbcab, v97
	;; [unrolled: 1-line block ×4, first 2 shown]
	v_fma_f16 v111, v115, 0x39e0, -v111
	v_fma_f16 v113, v118, 0x39e0, -v113
	;; [unrolled: 1-line block ×4, first 2 shown]
	v_fmamk_f16 v115, v109, 0xb574, v119
	v_fmamk_f16 v118, v74, 0xb574, v126
	v_fma_f16 v86, v86, 0xbb00, -v119
	v_fma_f16 v84, v84, 0xbb00, -v126
	v_fma_f16 v109, v109, 0x3574, -v127
	v_fma_f16 v74, v74, 0x3574, -v157
	v_add_f16_e32 v80, v80, v103
	v_add_f16_e32 v82, v82, v107
	;; [unrolled: 1-line block ×6, first 2 shown]
	v_fmac_f16_e32 v115, 0xb70e, v6
	v_fmac_f16_e32 v118, 0xb70e, v7
	v_fmac_f16_e32 v86, 0xb70e, v6
	v_fmac_f16_e32 v74, 0xb70e, v7
	v_fmac_f16_e32 v109, 0xb70e, v6
	v_fmac_f16_e32 v84, 0xb70e, v7
	v_add_f16_e32 v6, v118, v80
	v_sub_f16_e32 v7, v82, v115
	v_add_f16_e32 v103, v74, v58
	v_sub_f16_e32 v107, v78, v109
	v_sub_f16_e32 v119, v111, v84
	v_add_f16_e32 v126, v86, v113
	v_add_f16_e32 v84, v84, v111
	v_sub_f16_e32 v86, v113, v86
	v_sub_f16_e32 v58, v58, v74
	v_add_f16_e32 v74, v109, v78
	v_sub_f16_e32 v78, v80, v118
	v_add_f16_e32 v80, v115, v82
	v_add_f16_e64 v82, v200, v77
	v_add_f16_e64 v109, v169, v56
	;; [unrolled: 1-line block ×3, first 2 shown]
	v_add_f16_e32 v113, v5, v83
	v_sub_f16_e64 v77, v200, v77
	v_sub_f16_e64 v56, v169, v56
	;; [unrolled: 1-line block ×3, first 2 shown]
	v_sub_f16_e32 v5, v5, v83
	v_add_f16_e64 v83, v202, v75
	v_add_f16_e32 v118, v79, v1
	v_sub_f16_e64 v75, v75, v202
	v_sub_f16_e32 v1, v1, v79
	v_add_f16_e32 v79, v111, v82
	v_add_f16_e32 v127, v113, v109
	v_lshrrev_b32_e32 v168, 16, v73
	v_sub_f16_e64 v157, v111, v82
	v_sub_f16_e64 v159, v113, v109
	v_sub_f16_e32 v82, v82, v83
	v_sub_f16_e32 v109, v109, v118
	;; [unrolled: 1-line block ×4, first 2 shown]
	v_add_f16_e64 v160, v75, v115
	v_add_f16_e64 v161, v1, v5
	v_sub_f16_e64 v162, v75, v115
	v_sub_f16_e64 v163, v1, v5
	v_sub_f16_e32 v115, v115, v77
	v_add_f16_e32 v79, v83, v79
	v_add_f16_e32 v83, v118, v127
	v_sub_f16_e32 v5, v5, v56
	v_sub_f16_e32 v75, v77, v75
	;; [unrolled: 1-line block ×3, first 2 shown]
	v_add_f16_e64 v77, v160, v77
	v_add_f16_e64 v56, v161, v56
	v_add_f16_e32 v73, v73, v79
	v_add_f16_e64 v118, v168, v83
	v_mul_f16_e32 v82, 0x3a52, v82
	v_mul_f16_e32 v109, 0x3a52, v109
	;; [unrolled: 1-line block ×3, first 2 shown]
	v_mul_f16_e64 v160, 0x2b26, v113
	v_mul_f16_e64 v161, 0x3846, v162
	;; [unrolled: 1-line block ×5, first 2 shown]
	v_fmamk_f16 v79, v79, 0xbcab, v73
	v_fmamk_f16 v83, v83, 0xbcab, v118
	;; [unrolled: 1-line block ×4, first 2 shown]
	v_fma_f16 v127, v157, 0x39e0, -v127
	v_fma_f16 v160, v159, 0x39e0, -v160
	;; [unrolled: 1-line block ×4, first 2 shown]
	v_fma_f16 v157, 0xb574, v75, v161
	v_fma_f16 v159, 0xb574, v1, v162
	v_fma_f16 v75, v75, 0x3574, -v163
	v_fma_f16 v1, v1, 0x3574, -v164
	;; [unrolled: 1-line block ×4, first 2 shown]
	v_add_f16_e32 v111, v111, v79
	v_add_f16_e32 v113, v113, v83
	;; [unrolled: 1-line block ×5, first 2 shown]
	v_fmac_f16_e64 v157, 0xb70e, v77
	v_fmac_f16_e64 v159, 0xb70e, v56
	v_fmac_f16_e32 v1, 0xb70e, v56
	v_fmac_f16_e32 v75, 0xb70e, v77
	v_add_f16_e64 v160, v160, v83
	v_fmac_f16_e32 v115, 0xb70e, v77
	v_fmac_f16_e32 v5, 0xb70e, v56
	v_add_f16_e64 v56, v159, v111
	v_sub_f16_e64 v77, v113, v157
	v_add_f16_e32 v83, v1, v79
	v_sub_f16_e32 v109, v82, v75
	v_sub_f16_e32 v1, v79, v1
	v_add_f16_e32 v75, v75, v82
	v_sub_f16_e64 v79, v111, v159
	v_add_f16_e64 v82, v157, v113
	v_add_f16_e64 v111, v174, v176
	v_add_f16_e32 v113, v16, v62
	v_sub_f16_e32 v16, v16, v62
	v_add_f16_e32 v62, v81, v87
	v_add_f16_e64 v157, v17, v61
	v_sub_f16_e64 v161, v127, v5
	v_add_f16_e32 v5, v5, v127
	v_sub_f16_e64 v127, v174, v176
	v_sub_f16_e32 v81, v81, v87
	v_sub_f16_e32 v17, v17, v61
	v_add_f16_e32 v61, v88, v55
	v_add_f16_e32 v87, v18, v19
	v_sub_f16_e32 v55, v55, v88
	v_sub_f16_e32 v18, v19, v18
	v_add_f16_e32 v19, v62, v111
	v_add_f16_e64 v88, v157, v113
	v_lshrrev_b32_e32 v183, 16, v2
	v_add_f16_e64 v162, v115, v160
	v_sub_f16_e64 v115, v160, v115
	v_sub_f16_e64 v159, v62, v111
	;; [unrolled: 1-line block ×3, first 2 shown]
	v_sub_f16_e32 v111, v111, v61
	v_sub_f16_e32 v113, v113, v87
	;; [unrolled: 1-line block ×3, first 2 shown]
	v_sub_f16_e64 v157, v87, v157
	v_add_f16_e64 v163, v55, v81
	v_add_f16_e64 v164, v18, v17
	v_sub_f16_e64 v165, v55, v81
	v_sub_f16_e64 v166, v18, v17
	v_sub_f16_e32 v81, v81, v127
	v_add_f16_e32 v19, v61, v19
	v_add_f16_e32 v61, v87, v88
	v_sub_f16_e32 v17, v17, v16
	v_sub_f16_e32 v55, v127, v55
	;; [unrolled: 1-line block ×3, first 2 shown]
	v_add_f16_e64 v87, v163, v127
	v_add_f16_e64 v16, v164, v16
	v_add_f16_e32 v2, v2, v19
	v_add_f16_e64 v88, v183, v61
	v_mul_f16_e32 v111, 0x3a52, v111
	v_mul_f16_e32 v113, 0x3a52, v113
	;; [unrolled: 1-line block ×3, first 2 shown]
	v_mul_f16_e64 v163, 0x2b26, v157
	v_mul_f16_e64 v164, 0x3846, v165
	;; [unrolled: 1-line block ×5, first 2 shown]
	v_fmamk_f16 v19, v19, 0xbcab, v2
	v_fmamk_f16 v61, v61, 0xbcab, v88
	;; [unrolled: 1-line block ×3, first 2 shown]
	v_fma_f16 v157, 0x2b26, v157, v113
	v_fma_f16 v127, v159, 0x39e0, -v127
	v_fma_f16 v163, v160, 0x39e0, -v163
	;; [unrolled: 1-line block ×4, first 2 shown]
	v_fma_f16 v159, 0xb574, v55, v164
	v_fma_f16 v160, 0xb574, v18, v165
	v_fma_f16 v17, v17, 0xbb00, -v165
	v_fma_f16 v55, v55, 0x3574, -v166
	;; [unrolled: 1-line block ×3, first 2 shown]
	v_add_f16_e32 v62, v62, v19
	v_add_f16_e64 v157, v157, v61
	v_add_f16_e32 v127, v127, v19
	v_add_f16_e64 v163, v163, v61
	v_add_f16_e32 v19, v111, v19
	v_add_f16_e32 v61, v113, v61
	v_fmac_f16_e64 v160, 0xb70e, v16
	v_fmac_f16_e32 v18, 0xb70e, v16
	v_fmac_f16_e32 v55, 0xb70e, v87
	v_fmac_f16_e32 v17, 0xb70e, v16
	v_fma_f16 v81, v81, 0xbb00, -v164
	v_add_f16_e64 v16, v160, v62
	v_add_f16_e32 v111, v18, v19
	v_sub_f16_e32 v113, v61, v55
	v_sub_f16_e64 v164, v127, v17
	v_add_f16_e32 v17, v17, v127
	v_sub_f16_e32 v18, v19, v18
	v_add_f16_e32 v19, v55, v61
	v_sub_f16_e64 v55, v62, v160
	v_add_f16_e32 v62, v89, v93
	v_add_f16_e32 v127, v12, v60
	v_sub_f16_e32 v89, v89, v93
	v_sub_f16_e32 v12, v12, v60
	v_add_f16_e32 v60, v92, v99
	v_add_f16_e32 v93, v13, v59
	v_fmac_f16_e64 v159, 0xb70e, v87
	v_fmac_f16_e32 v81, 0xb70e, v87
	v_sub_f16_e32 v92, v92, v99
	v_sub_f16_e32 v13, v13, v59
	v_add_f16_e32 v59, v85, v91
	v_add_f16_e32 v99, v14, v15
	v_sub_f16_e32 v85, v91, v85
	v_sub_f16_e32 v14, v15, v14
	v_add_f16_e32 v15, v60, v62
	v_add_f16_e32 v91, v93, v127
	v_lshrrev_b32_e32 v71, 16, v3
	v_sub_f16_e64 v87, v157, v159
	v_add_f16_e64 v165, v81, v163
	v_sub_f16_e64 v81, v163, v81
	v_add_f16_e64 v61, v159, v157
	v_sub_f16_e64 v157, v60, v62
	v_sub_f16_e64 v159, v93, v127
	v_sub_f16_e32 v62, v62, v59
	v_sub_f16_e32 v127, v127, v99
	;; [unrolled: 1-line block ×4, first 2 shown]
	v_add_f16_e64 v160, v85, v92
	v_add_f16_e64 v163, v14, v13
	v_sub_f16_e64 v166, v85, v92
	v_sub_f16_e64 v167, v14, v13
	v_sub_f16_e32 v92, v92, v89
	v_add_f16_e32 v15, v59, v15
	v_add_f16_e32 v59, v99, v91
	v_sub_f16_e32 v13, v13, v12
	v_sub_f16_e32 v85, v89, v85
	;; [unrolled: 1-line block ×3, first 2 shown]
	v_add_f16_e64 v89, v160, v89
	v_add_f16_e64 v12, v163, v12
	v_add_f16_e32 v3, v3, v15
	v_add_f16_e32 v71, v71, v59
	v_mul_f16_e32 v62, 0x3a52, v62
	v_mul_f16_e32 v91, 0x3a52, v127
	;; [unrolled: 1-line block ×4, first 2 shown]
	v_mul_f16_e64 v160, 0x3846, v166
	v_mul_f16_e64 v163, 0x3846, v167
	v_mul_f16_e64 v166, 0xbb00, v92
	v_mul_f16_e64 v167, 0xbb00, v13
	v_fmamk_f16 v15, v15, 0xbcab, v3
	v_fmamk_f16 v59, v59, 0xbcab, v71
	;; [unrolled: 1-line block ×4, first 2 shown]
	v_fma_f16 v99, v157, 0x39e0, -v99
	v_fma_f16 v127, v159, 0x39e0, -v127
	;; [unrolled: 1-line block ×4, first 2 shown]
	v_fma_f16 v157, 0xb574, v85, v160
	v_fma_f16 v159, 0xb574, v14, v163
	v_fma_f16 v85, v85, 0x3574, -v166
	v_fma_f16 v14, v14, 0x3574, -v167
	;; [unrolled: 1-line block ×4, first 2 shown]
	v_add_f16_e32 v60, v60, v15
	v_add_f16_e32 v93, v93, v59
	;; [unrolled: 1-line block ×6, first 2 shown]
	v_fmac_f16_e64 v157, 0xb70e, v89
	v_fmac_f16_e64 v159, 0xb70e, v12
	v_fmac_f16_e32 v14, 0xb70e, v12
	v_fmac_f16_e32 v85, 0xb70e, v89
	;; [unrolled: 1-line block ×4, first 2 shown]
	v_add_f16_e64 v12, v159, v60
	v_sub_f16_e64 v62, v93, v157
	v_add_f16_e32 v89, v14, v15
	v_sub_f16_e32 v91, v59, v85
	v_sub_f16_e32 v14, v15, v14
	v_add_f16_e32 v15, v85, v59
	v_sub_f16_e64 v59, v60, v159
	v_add_f16_e64 v60, v157, v93
	v_add_f16_e32 v85, v101, v94
	v_add_f16_e32 v93, v8, v57
	v_sub_f16_e32 v8, v8, v57
	v_add_f16_e32 v57, v90, v76
	v_sub_f16_e64 v160, v99, v13
	v_add_f16_e32 v13, v13, v99
	v_add_f16_e32 v99, v9, v11
	v_sub_f16_e32 v76, v90, v76
	v_sub_f16_e32 v9, v9, v11
	v_add_f16_e32 v11, v95, v105
	v_add_f16_e32 v90, v4, v10
	v_sub_f16_e32 v95, v105, v95
	v_sub_f16_e32 v4, v10, v4
	v_add_f16_e32 v10, v57, v85
	v_sub_f16_e32 v94, v101, v94
	v_add_f16_e32 v101, v99, v93
	v_sub_f16_e32 v105, v57, v85
	v_sub_f16_e32 v57, v11, v57
	v_add_f16_e64 v157, v95, v76
	v_add_f16_e64 v159, v4, v9
	v_sub_f16_e64 v167, v4, v9
	v_add_f16_e32 v10, v11, v10
	v_lshrrev_b32_e32 v70, 16, v0
	v_add_f16_e64 v163, v92, v127
	v_sub_f16_e32 v92, v127, v92
	v_sub_f16_e32 v127, v99, v93
	;; [unrolled: 1-line block ×5, first 2 shown]
	v_sub_f16_e64 v166, v95, v76
	v_sub_f16_e32 v95, v94, v95
	v_sub_f16_e32 v4, v8, v4
	;; [unrolled: 1-line block ×3, first 2 shown]
	v_add_f16_e32 v11, v90, v101
	v_sub_f16_e32 v9, v9, v8
	v_add_f16_e64 v90, v157, v94
	v_add_f16_e64 v8, v159, v8
	v_add_f16_e32 v0, v0, v10
	v_mul_f16_e32 v94, 0x2b26, v57
	v_mul_f16_e64 v159, 0x3846, v167
	v_mul_f16_e64 v167, 0xbb00, v9
	v_add_f16_e32 v70, v70, v11
	v_fmamk_f16 v10, v10, 0xbcab, v0
	v_fma_f16 v94, v105, 0x39e0, -v94
	v_fma_f16 v9, v9, 0xbb00, -v159
	v_mul_f16_e32 v85, 0x3a52, v85
	v_mul_f16_e32 v93, 0x3a52, v93
	;; [unrolled: 1-line block ×3, first 2 shown]
	v_mul_f16_e64 v157, 0x3846, v166
	v_mul_f16_e64 v166, 0xbb00, v76
	v_add_f16_e32 v94, v94, v10
	v_fmac_f16_e32 v9, 0xb70e, v8
	v_fmamk_f16 v11, v11, 0xbcab, v70
	v_fmamk_f16 v57, v57, 0x2b26, v85
	;; [unrolled: 1-line block ×3, first 2 shown]
	v_fma_f16 v101, v127, 0x39e0, -v101
	v_fma_f16 v85, v105, 0xb9e0, -v85
	;; [unrolled: 1-line block ×3, first 2 shown]
	v_fma_f16 v105, 0xb574, v95, v157
	v_fma_f16 v127, 0xb574, v4, v159
	v_pack_b32_f16 v72, v72, v97
	v_pack_b32_f16 v6, v6, v7
	v_fma_f16 v76, v76, 0xbb00, -v157
	v_fma_f16 v95, v95, 0x3574, -v166
	;; [unrolled: 1-line block ×3, first 2 shown]
	v_sub_f16_e64 v157, v94, v9
	v_add_f16_e32 v9, v9, v94
	v_pack_b32_f16 v7, v103, v107
	v_pack_b32_f16 v94, v119, v126
	;; [unrolled: 1-line block ×6, first 2 shown]
	v_add_f16_e32 v57, v57, v10
	v_add_f16_e32 v99, v99, v11
	v_fmac_f16_e32 v105, 0xb70e, v90
	v_fmac_f16_e32 v127, 0xb70e, v8
	global_wb scope:SCOPE_SE
	s_barrier_signal -1
	s_barrier_wait -1
	global_inv scope:SCOPE_SE
	ds_store_2addr_b32 v96, v72, v6 offset1:56
	ds_store_2addr_b32 v96, v7, v94 offset0:112 offset1:168
	ds_store_2addr_b32 v66, v84, v58 offset0:96 offset1:152
	;; [unrolled: 1-line block ×3, first 2 shown]
	v_pack_b32_f16 v6, v56, v77
	v_pack_b32_f16 v7, v83, v109
	v_add_f16_e32 v101, v101, v11
	v_add_f16_e32 v10, v85, v10
	;; [unrolled: 1-line block ×3, first 2 shown]
	v_fmac_f16_e32 v76, 0xb70e, v90
	v_fmac_f16_e32 v4, 0xb70e, v8
	;; [unrolled: 1-line block ×3, first 2 shown]
	v_pack_b32_f16 v56, v161, v162
	v_pack_b32_f16 v5, v5, v115
	;; [unrolled: 1-line block ×6, first 2 shown]
	v_add_nc_u32_e32 v72, 0xc00, v241
	v_pack_b32_f16 v73, v111, v113
	v_pack_b32_f16 v74, v164, v165
	v_add_f16_e32 v8, v127, v57
	v_sub_f16_e32 v85, v99, v105
	ds_store_2addr_b32 v63, v6, v7 offset0:192 offset1:248
	ds_store_2addr_b32 v67, v56, v5 offset0:48 offset1:104
	ds_store_2addr_b32 v67, v1, v58 offset0:160 offset1:216
	ds_store_2addr_b32 v72, v2, v16 offset0:16 offset1:72
	ds_store_2addr_b32 v72, v73, v74 offset0:128 offset1:184
	v_pack_b32_f16 v1, v17, v81
	v_pack_b32_f16 v2, v18, v19
	v_add_nc_u32_e32 v5, 0xe00, v241
	v_pack_b32_f16 v3, v3, v71
	v_pack_b32_f16 v6, v12, v62
	v_add_nc_u32_e32 v7, 0x1000, v242
	v_add_f16_e32 v90, v4, v10
	v_sub_f16_e32 v93, v11, v95
	v_add_f16_e64 v159, v76, v101
	v_pack_b32_f16 v12, v89, v91
	v_pack_b32_f16 v16, v160, v163
	v_add_nc_u32_e32 v17, 0x1400, v242
	v_sub_f16_e32 v76, v101, v76
	v_sub_f16_e32 v4, v10, v4
	v_add_f16_e32 v10, v95, v11
	v_pack_b32_f16 v13, v13, v92
	v_pack_b32_f16 v14, v14, v15
	v_sub_f16_e32 v11, v57, v127
	v_add_f16_e32 v57, v105, v99
	ds_store_2addr_b32 v5, v1, v2 offset0:112 offset1:168
	ds_store_2addr_b32 v7, v3, v6 offset0:152 offset1:208
	;; [unrolled: 1-line block ×4, first 2 shown]
	v_pack_b32_f16 v0, v0, v70
	v_pack_b32_f16 v2, v8, v85
	v_add_nc_u32_e32 v3, 0x1800, v243
	v_pack_b32_f16 v5, v90, v93
	v_pack_b32_f16 v6, v157, v159
	;; [unrolled: 1-line block ×4, first 2 shown]
	v_add_nc_u32_e32 v8, 0x1c00, v243
	v_pack_b32_f16 v1, v55, v61
	v_pack_b32_f16 v9, v59, v60
	ds_store_2addr_b32 v3, v0, v2 offset0:32 offset1:88
	v_pack_b32_f16 v0, v11, v57
	ds_store_2addr_b32 v3, v5, v6 offset0:144 offset1:200
	ds_store_2addr_b32 v8, v7, v4 offset1:56
	ds_store_b32 v241, v1 offset:4480
	ds_store_b32 v242, v9 offset:6048
	ds_store_b32 v243, v0 offset:7616
	global_wb scope:SCOPE_SE
	s_wait_dscnt 0x0
	s_barrier_signal -1
	s_barrier_wait -1
	global_inv scope:SCOPE_SE
	ds_load_2addr_b32 v[6:7], v96 offset1:56
	ds_load_2addr_b32 v[0:1], v63 offset0:80 offset1:136
	ds_load_2addr_b32 v[15:16], v54 offset0:16 offset1:72
	;; [unrolled: 1-line block ×12, first 2 shown]
	ds_load_2addr_b32 v[80:81], v51 offset1:56
	ds_load_2addr_b32 v[82:83], v67 offset0:160 offset1:216
	ds_load_2addr_b32 v[84:85], v53 offset0:176 offset1:232
	ds_load_b32 v95, v96 offset:7616
	ds_load_2addr_b32 v[2:3], v66 offset0:96 offset1:152
	s_mov_b32 s8, 0xec259dc8
	s_mov_b32 s9, 0x3f40b7e6
	s_wait_dscnt 0x11
	v_lshrrev_b32_e32 v10, 16, v6
	s_wait_dscnt 0x10
	v_lshrrev_b32_e32 v17, 16, v1
	s_wait_dscnt 0xf
	v_lshrrev_b32_e32 v71, 16, v15
	v_lshrrev_b32_e32 v87, 16, v16
	s_wait_dscnt 0xd
	v_lshrrev_b32_e32 v75, 16, v55
	s_wait_dscnt 0xc
	v_lshrrev_b32_e32 v86, 16, v57
	v_mul_f16_e32 v126, v123, v17
	v_mul_f16_e32 v123, v123, v1
	v_mul_f16_e64 v160, v246, v71
	s_wait_dscnt 0xb
	v_lshrrev_b32_e32 v88, 16, v59
	v_lshrrev_b32_e32 v90, 16, v58
	v_fmac_f16_e32 v126, v20, v1
	v_mul_f16_e64 v1, v246, v15
	v_fmac_f16_e64 v160, v21, v15
	v_mul_f16_e64 v15, v253, v57
	v_mul_f16_e64 v166, v248, v88
	v_lshrrev_b32_e32 v74, 16, v19
	v_fma_f16 v71, v21, v71, -v1
	v_mul_f16_e64 v1, v247, v55
	v_lshrrev_b32_e32 v89, 16, v56
	s_wait_dscnt 0x9
	v_lshrrev_b32_e32 v91, 16, v61
	v_lshrrev_b32_e32 v92, 16, v60
	s_wait_dscnt 0x8
	v_lshrrev_b32_e32 v93, 16, v69
	v_fma_f16 v165, v23, v75, -v1
	v_mul_f16_e64 v1, v248, v59
	v_fma_f16 v123, v20, v17, -v123
	v_mul_f16_e32 v17, v121, v19
	v_mul_f16_e64 v163, v253, v86
	v_mul_f16_e64 v164, v244, v87
	v_fma_f16 v88, v26, v88, -v1
	v_mul_f16_e64 v1, v131, v58
	v_fma_f16 v86, v24, v86, -v15
	v_mul_f16_e64 v15, v245, v56
	v_mul_f16_e64 v168, v131, v90
	s_wait_dscnt 0x7
	v_lshrrev_b32_e32 v94, 16, v72
	v_fma_f16 v90, v32, v90, -v1
	v_mul_f16_e64 v1, v134, v69
	v_lshrrev_b32_e32 v97, 16, v62
	v_fma_f16 v162, v22, v74, -v17
	v_mul_f16_e64 v17, v244, v16
	v_fmac_f16_e64 v164, v25, v16
	v_mul_f16_e64 v167, v245, v89
	v_fma_f16 v89, v27, v89, -v15
	v_mul_f16_e64 v131, v135, v91
	v_mul_f16_e64 v15, v135, v61
	;; [unrolled: 1-line block ×5, first 2 shown]
	v_fma_f16 v93, v35, v93, -v1
	v_mul_f16_e64 v1, v140, v62
	s_wait_dscnt 0x6
	v_lshrrev_b32_e32 v99, 16, v76
	v_lshrrev_b32_e32 v103, 16, v73
	v_mul_f16_e64 v161, v121, v74
	v_mul_f16_e64 v121, v247, v75
	v_fma_f16 v91, v33, v91, -v15
	v_mul_f16_e64 v134, v143, v94
	v_mul_f16_e64 v15, v143, v72
	v_fma_f16 v75, v29, v97, -v1
	v_mul_f16_e64 v1, v148, v73
	v_lshrrev_b32_e32 v101, 16, v70
	v_lshrrev_b32_e32 v107, 16, v77
	v_fmac_f16_e32 v121, v23, v55
	v_fmac_f16_e64 v134, v28, v72
	v_fma_f16 v72, v28, v94, -v15
	v_mul_f16_e64 v94, v142, v99
	v_mul_f16_e64 v15, v142, v76
	v_fma_f16 v55, v36, v103, -v1
	v_mul_f16_e64 v1, v145, v77
	s_wait_dscnt 0x5
	v_lshrrev_b32_e32 v105, 16, v78
	v_lshrrev_b32_e32 v113, 16, v79
	v_fmac_f16_e64 v166, v26, v59
	v_fma_f16 v92, v34, v92, -v16
	v_mul_f16_e64 v74, v140, v97
	v_mul_f16_e64 v140, v137, v101
	;; [unrolled: 1-line block ×3, first 2 shown]
	v_fmac_f16_e32 v94, v30, v76
	v_fma_f16 v76, v30, v99, -v15
	v_mul_f16_e64 v15, v171, v78
	v_fma_f16 v59, v38, v107, -v1
	v_mul_f16_e64 v1, v173, v79
	s_wait_dscnt 0x4
	v_lshrrev_b32_e32 v109, 16, v80
	v_lshrrev_b32_e32 v118, 16, v81
	;; [unrolled: 1-line block ×3, first 2 shown]
	v_fmac_f16_e64 v161, v22, v19
	v_fmac_f16_e64 v167, v27, v56
	;; [unrolled: 1-line block ×4, first 2 shown]
	v_fma_f16 v97, v31, v101, -v16
	v_mul_f16_e64 v58, v145, v107
	v_fma_f16 v56, v37, v105, -v15
	v_mul_f16_e64 v15, v151, v80
	v_fma_f16 v31, v45, v113, -v1
	v_mul_f16_e64 v1, v152, v81
	s_wait_dscnt 0x3
	v_lshrrev_b32_e32 v111, 16, v82
	s_wait_dscnt 0x2
	v_lshrrev_b32_e32 v115, 16, v84
	v_lshrrev_b32_e32 v119, 16, v83
	v_fma_f16 v87, v25, v87, -v17
	v_fmac_f16_e64 v135, v34, v60
	v_fmac_f16_e32 v58, v38, v77
	v_mul_f16_e64 v16, v177, v82
	v_fma_f16 v60, v39, v109, -v15
	v_mul_f16_e64 v15, v175, v84
	v_mul_f16_e64 v17, v182, v127
	v_fma_f16 v38, v47, v118, -v1
	v_add_f16_e64 v1, v160, v161
	v_lshrrev_b32_e32 v157, 16, v85
	v_fmac_f16_e32 v74, v29, v62
	v_fma_f16 v28, v44, v111, -v16
	v_fma_f16 v34, v46, v115, -v15
	v_mul_f16_e64 v19, v181, v119
	v_mul_f16_e64 v15, v181, v83
	;; [unrolled: 1-line block ×3, first 2 shown]
	v_fmac_f16_e32 v17, v41, v18
	v_mul_f16_e64 v18, v155, v85
	v_fma_f16 v1, -0.5, v1, v6
	v_sub_f16_e64 v27, v123, v165
	v_add_f16_e32 v29, v126, v121
	s_wait_dscnt 0x1
	v_lshrrev_b32_e32 v159, 16, v95
	v_fmac_f16_e64 v163, v24, v57
	v_fmac_f16_e32 v19, v40, v83
	v_fma_f16 v15, v40, v119, -v15
	v_add_f16_e32 v22, v6, v126
	v_fma_f16 v20, v42, v157, -v18
	v_fmamk_f16 v18, v27, 0xbb9c, v1
	v_sub_f16_e64 v25, v71, v162
	v_sub_f16_e64 v23, v126, v160
	v_sub_f16_e64 v24, v121, v161
	v_mul_f16_e64 v30, v179, v95
	v_fma_f16 v6, -0.5, v29, v6
	v_fmac_f16_e32 v1, 0x3b9c, v27
	v_add_f16_e64 v40, v71, v162
	v_fmac_f16_e64 v129, v35, v69
	v_mul_f16_e64 v57, v171, v105
	v_mul_f16_e64 v21, v155, v157
	v_fmac_f16_e32 v18, 0xb8b4, v25
	v_add_f16_e32 v32, v23, v24
	v_fma_f16 v24, v43, v159, -v30
	v_fmamk_f16 v23, v25, 0x3b9c, v6
	v_sub_f16_e64 v29, v160, v126
	v_sub_f16_e64 v30, v161, v121
	v_fmac_f16_e32 v1, 0x38b4, v25
	v_add_f16_e32 v35, v10, v123
	v_fmac_f16_e32 v6, 0xbb9c, v25
	v_fma_f16 v25, -0.5, v40, v10
	v_sub_f16_e32 v40, v126, v121
	v_fmac_f16_e32 v57, v37, v78
	v_mul_f16_e64 v62, v151, v109
	v_mul_f16_e64 v37, v177, v111
	v_fma_f16 v16, v41, v127, -v16
	v_mul_f16_e64 v26, v179, v159
	v_fmac_f16_e32 v21, v42, v85
	v_fmac_f16_e32 v18, 0x34f2, v32
	;; [unrolled: 1-line block ×3, first 2 shown]
	v_add_f16_e32 v29, v29, v30
	v_add_f16_e32 v30, v35, v71
	v_fmac_f16_e32 v1, 0x34f2, v32
	v_fmac_f16_e32 v6, 0x38b4, v27
	v_fmamk_f16 v27, v40, 0x3b9c, v25
	v_add_f16_e64 v32, v123, v165
	v_sub_f16_e64 v35, v160, v161
	v_sub_f16_e32 v41, v123, v71
	v_sub_f16_e64 v42, v165, v162
	v_fmac_f16_e32 v25, 0xbb9c, v40
	v_fmac_f16_e64 v131, v33, v61
	v_mul_f16_e64 v61, v148, v103
	v_fmac_f16_e32 v62, v39, v80
	v_fmac_f16_e32 v37, v44, v82
	v_mul_f16_e64 v39, v152, v118
	v_fmac_f16_e32 v26, v43, v95
	v_add_f16_e64 v30, v30, v162
	v_fmac_f16_e32 v10, -0.5, v32
	v_fmac_f16_e32 v27, 0x38b4, v35
	v_add_f16_e32 v41, v41, v42
	v_sub_f16_e32 v32, v71, v123
	v_sub_f16_e64 v42, v162, v165
	v_add_f16_e64 v43, v164, v166
	v_fmac_f16_e32 v25, 0xb8b4, v35
	v_add_f16_e64 v44, v7, v163
	v_fmac_f16_e32 v61, v36, v73
	v_mul_f16_e64 v33, v173, v113
	v_mul_f16_e64 v36, v175, v115
	v_fmac_f16_e32 v39, v47, v81
	v_fmac_f16_e32 v23, 0x34f2, v29
	;; [unrolled: 1-line block ×3, first 2 shown]
	v_add_f16_e64 v29, v30, v165
	v_fmamk_f16 v30, v35, 0xbb9c, v10
	v_fmac_f16_e32 v27, 0x34f2, v41
	v_add_f16_e32 v42, v32, v42
	v_fma_f16 v32, -0.5, v43, v7
	v_sub_f16_e32 v43, v86, v89
	v_fmac_f16_e32 v25, 0x34f2, v41
	v_fmac_f16_e32 v10, 0x3b9c, v35
	v_add_f16_e64 v41, v44, v164
	v_add_f16_e64 v47, v163, v167
	v_lshrrev_b32_e32 v13, 16, v7
	v_fmac_f16_e32 v33, v45, v79
	v_fmac_f16_e32 v36, v46, v84
	;; [unrolled: 1-line block ×3, first 2 shown]
	v_fmamk_f16 v35, v43, 0xbb9c, v32
	v_sub_f16_e32 v44, v87, v88
	v_sub_f16_e64 v45, v163, v164
	v_sub_f16_e64 v46, v167, v166
	v_fmac_f16_e32 v10, 0xb8b4, v40
	v_add_f16_e64 v40, v41, v166
	v_fmac_f16_e32 v7, -0.5, v47
	v_fmac_f16_e32 v32, 0x3b9c, v43
	v_fmac_f16_e32 v30, 0x34f2, v42
	;; [unrolled: 1-line block ×3, first 2 shown]
	v_add_f16_e32 v45, v45, v46
	v_fmac_f16_e32 v10, 0x34f2, v42
	v_add_f16_e64 v41, v40, v167
	v_fmamk_f16 v40, v44, 0x3b9c, v7
	v_sub_f16_e64 v42, v164, v163
	v_sub_f16_e64 v46, v166, v167
	v_fmac_f16_e32 v32, 0x38b4, v44
	v_add_f16_e32 v47, v13, v86
	v_add_f16_e32 v69, v87, v88
	v_fmac_f16_e32 v7, 0xbb9c, v44
	v_fmac_f16_e32 v35, 0x34f2, v45
	;; [unrolled: 1-line block ×3, first 2 shown]
	v_add_f16_e32 v46, v42, v46
	v_add_f16_e32 v44, v47, v87
	v_fma_f16 v42, -0.5, v69, v13
	v_sub_f16_e64 v69, v163, v167
	v_fmac_f16_e32 v32, 0x34f2, v45
	v_fmac_f16_e32 v7, 0x38b4, v43
	v_add_f16_e32 v45, v86, v89
	v_sub_f16_e32 v70, v86, v87
	v_sub_f16_e32 v71, v89, v88
	v_fmac_f16_e32 v40, 0x34f2, v46
	v_add_f16_e32 v44, v44, v88
	v_fmamk_f16 v43, v69, 0x3b9c, v42
	v_sub_f16_e64 v47, v164, v166
	v_fmac_f16_e32 v7, 0x34f2, v46
	v_fmac_f16_e32 v13, -0.5, v45
	v_add_f16_e32 v70, v70, v71
	v_fmac_f16_e32 v42, 0xbb9c, v69
	v_sub_f16_e32 v46, v87, v86
	v_sub_f16_e32 v71, v88, v89
	v_add_f16_e64 v73, v131, v135
	v_add_f16_e32 v45, v44, v89
	v_fmac_f16_e32 v43, 0x38b4, v47
	v_fmamk_f16 v44, v47, 0xbb9c, v13
	v_fmac_f16_e32 v42, 0xb8b4, v47
	v_add_f16_e32 v71, v46, v71
	v_add_f16_e64 v77, v4, v168
	v_fma_f16 v46, -0.5, v73, v4
	v_sub_f16_e32 v73, v90, v93
	v_fmac_f16_e32 v13, 0x3b9c, v47
	v_lshrrev_b32_e32 v14, 16, v4
	v_fmac_f16_e32 v43, 0x34f2, v70
	v_fmac_f16_e32 v44, 0x38b4, v69
	;; [unrolled: 1-line block ×3, first 2 shown]
	v_add_f16_e64 v70, v77, v131
	v_fmamk_f16 v47, v73, 0xbb9c, v46
	v_sub_f16_e32 v77, v91, v92
	v_sub_f16_e64 v78, v168, v131
	v_sub_f16_e64 v79, v129, v135
	v_add_f16_e64 v80, v168, v129
	v_fmac_f16_e32 v13, 0xb8b4, v69
	v_fmac_f16_e32 v46, 0x3b9c, v73
	;; [unrolled: 1-line block ×4, first 2 shown]
	v_add_f16_e32 v78, v78, v79
	v_fma_f16 v69, -0.5, v80, v4
	v_fmac_f16_e32 v13, 0x34f2, v71
	v_sub_f16_e64 v71, v131, v168
	v_sub_f16_e64 v79, v135, v129
	v_fmac_f16_e32 v46, 0x38b4, v77
	v_add_f16_e32 v80, v14, v90
	v_add_f16_e32 v81, v91, v92
	v_fmac_f16_e32 v47, 0x34f2, v78
	v_fmamk_f16 v4, v77, 0x3b9c, v69
	v_add_f16_e32 v79, v71, v79
	v_fmac_f16_e32 v69, 0xbb9c, v77
	v_add_f16_e32 v77, v80, v91
	v_fma_f16 v71, -0.5, v81, v14
	v_sub_f16_e64 v80, v168, v129
	v_fmac_f16_e32 v46, 0x34f2, v78
	v_add_f16_e32 v78, v90, v93
	v_sub_f16_e32 v82, v90, v91
	v_sub_f16_e32 v83, v93, v92
	v_fmac_f16_e32 v4, 0xb8b4, v73
	v_fmac_f16_e32 v69, 0x38b4, v73
	v_fmamk_f16 v73, v80, 0x3b9c, v71
	v_sub_f16_e64 v81, v131, v135
	v_fmac_f16_e32 v14, -0.5, v78
	v_add_f16_e32 v78, v82, v83
	v_fmac_f16_e32 v71, 0xbb9c, v80
	v_sub_f16_e32 v82, v91, v90
	v_sub_f16_e32 v83, v92, v93
	v_add_f16_e32 v84, v74, v94
	v_lshrrev_b32_e32 v12, 16, v5
	v_fmac_f16_e32 v4, 0x34f2, v79
	v_fmac_f16_e32 v69, 0x34f2, v79
	;; [unrolled: 1-line block ×3, first 2 shown]
	v_fmamk_f16 v79, v81, 0xbb9c, v14
	v_fmac_f16_e32 v71, 0xb8b4, v81
	v_add_f16_e32 v82, v82, v83
	v_add_f16_e64 v83, v5, v134
	v_fma_f16 v84, -0.5, v84, v5
	v_sub_f16_e32 v85, v72, v97
	v_fmac_f16_e32 v14, 0x3b9c, v81
	v_sub_f16_e64 v86, v134, v74
	v_sub_f16_e64 v87, v140, v94
	v_add_f16_e64 v88, v134, v140
	v_fmac_f16_e32 v73, 0x34f2, v78
	v_fmac_f16_e32 v79, 0x38b4, v80
	;; [unrolled: 1-line block ×3, first 2 shown]
	v_add_f16_e32 v78, v83, v74
	v_fmamk_f16 v81, v85, 0xbb9c, v84
	v_sub_f16_e32 v83, v75, v76
	v_fmac_f16_e32 v14, 0xb8b4, v80
	v_add_f16_e32 v80, v86, v87
	v_fmac_f16_e32 v5, -0.5, v88
	v_fmac_f16_e32 v84, 0x3b9c, v85
	v_sub_f16_e64 v86, v74, v134
	v_sub_f16_e64 v87, v94, v140
	v_add_f16_e32 v88, v12, v72
	v_add_f16_e32 v89, v75, v76
	v_fmac_f16_e32 v79, 0x34f2, v82
	v_fmac_f16_e32 v81, 0xb8b4, v83
	;; [unrolled: 1-line block ×3, first 2 shown]
	v_fmamk_f16 v82, v83, 0x3b9c, v5
	v_fmac_f16_e32 v84, 0x38b4, v83
	v_add_f16_e32 v86, v86, v87
	v_fmac_f16_e32 v5, 0xbb9c, v83
	v_add_f16_e32 v83, v88, v75
	v_fma_f16 v87, -0.5, v89, v12
	v_sub_f16_e64 v88, v134, v140
	v_fmac_f16_e32 v81, 0x34f2, v80
	v_fmac_f16_e32 v82, 0xb8b4, v85
	;; [unrolled: 1-line block ×4, first 2 shown]
	v_add_f16_e32 v80, v83, v76
	v_fmamk_f16 v83, v88, 0x3b9c, v87
	v_add_f16_e32 v85, v72, v97
	v_sub_f16_e32 v74, v74, v94
	v_sub_f16_e32 v89, v72, v75
	;; [unrolled: 1-line block ×3, first 2 shown]
	v_fmac_f16_e32 v87, 0xbb9c, v88
	v_sub_f16_e32 v72, v75, v72
	v_sub_f16_e32 v75, v76, v97
	v_add_f16_e32 v76, v57, v58
	v_fmac_f16_e32 v12, -0.5, v85
	v_fmac_f16_e32 v83, 0x38b4, v74
	v_add_f16_e32 v85, v89, v90
	v_fmac_f16_e32 v87, 0xb8b4, v74
	v_add_f16_e32 v72, v72, v75
	s_wait_dscnt 0x0
	v_add_f16_e32 v75, v2, v61
	v_fma_f16 v76, -0.5, v76, v2
	v_sub_f16_e32 v89, v55, v60
	v_lshrrev_b32_e32 v11, 16, v2
	v_add_f16_e32 v77, v77, v92
	v_fmac_f16_e32 v82, 0x34f2, v86
	v_fmac_f16_e32 v5, 0x34f2, v86
	v_fmamk_f16 v86, v74, 0xbb9c, v12
	v_fmac_f16_e32 v83, 0x34f2, v85
	v_fmac_f16_e32 v87, 0x34f2, v85
	v_fmac_f16_e32 v12, 0x3b9c, v74
	v_add_f16_e32 v74, v75, v57
	v_fmamk_f16 v75, v89, 0xbb9c, v76
	v_sub_f16_e32 v85, v56, v59
	v_sub_f16_e32 v90, v61, v57
	;; [unrolled: 1-line block ×3, first 2 shown]
	v_add_f16_e32 v92, v61, v62
	v_fmac_f16_e32 v76, 0x3b9c, v89
	v_add_f16_e32 v77, v77, v93
	v_fmac_f16_e32 v86, 0x38b4, v88
	v_fmac_f16_e32 v12, 0xb8b4, v88
	v_add_f16_e32 v74, v74, v58
	v_fmac_f16_e32 v75, 0xb8b4, v85
	v_add_f16_e32 v88, v90, v91
	v_fma_f16 v2, -0.5, v92, v2
	v_sub_f16_e32 v90, v57, v61
	v_sub_f16_e32 v91, v58, v62
	v_fmac_f16_e32 v76, 0x38b4, v85
	v_add_f16_e32 v92, v11, v55
	v_add_f16_e32 v93, v56, v59
	v_fmac_f16_e32 v86, 0x34f2, v72
	v_fmac_f16_e32 v12, 0x34f2, v72
	v_add_f16_e32 v72, v74, v62
	v_fmac_f16_e32 v75, 0x34f2, v88
	v_fmamk_f16 v74, v85, 0x3b9c, v2
	v_add_f16_e32 v90, v90, v91
	v_fmac_f16_e32 v2, 0xbb9c, v85
	v_add_f16_e32 v85, v92, v56
	v_fma_f16 v91, -0.5, v93, v11
	v_sub_f16_e32 v61, v61, v62
	v_fmac_f16_e32 v76, 0x34f2, v88
	v_add_f16_e32 v88, v55, v60
	v_sub_f16_e32 v57, v57, v58
	v_sub_f16_e32 v58, v55, v56
	v_sub_f16_e32 v55, v56, v55
	v_sub_f16_e32 v56, v59, v60
	v_fmac_f16_e32 v74, 0xb8b4, v89
	v_fmac_f16_e32 v2, 0x38b4, v89
	v_add_f16_e32 v62, v85, v59
	v_fmamk_f16 v85, v61, 0x3b9c, v91
	v_sub_f16_e32 v89, v60, v59
	v_fmac_f16_e32 v11, -0.5, v88
	v_fmac_f16_e32 v91, 0xbb9c, v61
	v_add_f16_e32 v55, v55, v56
	v_add_f16_e32 v56, v3, v37
	v_fmac_f16_e32 v85, 0x38b4, v57
	v_add_f16_e32 v58, v58, v89
	v_fmamk_f16 v88, v57, 0xbb9c, v11
	v_add_f16_e32 v59, v33, v36
	v_fmac_f16_e32 v91, 0xb8b4, v57
	v_fmac_f16_e32 v11, 0x3b9c, v57
	v_add_f16_e32 v56, v56, v33
	v_add_f16_e32 v92, v37, v39
	v_lshrrev_b32_e32 v9, 16, v3
	v_fmac_f16_e32 v74, 0x34f2, v90
	v_fmac_f16_e32 v2, 0x34f2, v90
	v_add_f16_e32 v62, v62, v60
	v_fmac_f16_e32 v85, 0x34f2, v58
	v_fmac_f16_e32 v88, 0x38b4, v61
	v_fma_f16 v59, -0.5, v59, v3
	v_sub_f16_e32 v60, v28, v38
	v_fmac_f16_e32 v91, 0x34f2, v58
	v_sub_f16_e32 v58, v31, v34
	v_sub_f16_e32 v89, v37, v33
	;; [unrolled: 1-line block ×3, first 2 shown]
	v_fmac_f16_e32 v11, 0xb8b4, v61
	v_add_f16_e32 v56, v56, v36
	v_fmac_f16_e32 v3, -0.5, v92
	v_fmac_f16_e32 v88, 0x34f2, v55
	v_fmamk_f16 v57, v60, 0xbb9c, v59
	v_add_f16_e32 v61, v89, v90
	v_fmac_f16_e32 v11, 0x34f2, v55
	v_add_f16_e32 v55, v56, v39
	v_fmac_f16_e32 v59, 0x3b9c, v60
	v_fmamk_f16 v56, v58, 0x3b9c, v3
	v_sub_f16_e32 v89, v33, v37
	v_sub_f16_e32 v90, v36, v39
	v_add_f16_e32 v92, v9, v28
	v_add_f16_e32 v93, v31, v34
	v_fmac_f16_e32 v3, 0xbb9c, v58
	v_fmac_f16_e32 v57, 0xb8b4, v58
	;; [unrolled: 1-line block ×4, first 2 shown]
	v_add_f16_e32 v89, v89, v90
	v_add_f16_e32 v58, v92, v31
	v_fma_f16 v90, -0.5, v93, v9
	v_sub_f16_e32 v37, v37, v39
	v_fmac_f16_e32 v3, 0x38b4, v60
	v_add_f16_e32 v60, v28, v38
	v_fmac_f16_e32 v57, 0x34f2, v61
	v_fmac_f16_e32 v59, 0x34f2, v61
	v_add_f16_e32 v39, v58, v34
	v_fmamk_f16 v58, v37, 0x3b9c, v90
	v_sub_f16_e32 v33, v33, v36
	v_sub_f16_e32 v36, v28, v31
	;; [unrolled: 1-line block ×3, first 2 shown]
	v_fmac_f16_e32 v9, -0.5, v60
	v_fmac_f16_e32 v90, 0xbb9c, v37
	v_sub_f16_e32 v28, v31, v28
	v_sub_f16_e32 v31, v34, v38
	v_add_f16_e32 v34, v17, v21
	v_fmac_f16_e32 v58, 0x38b4, v33
	v_add_f16_e32 v36, v36, v61
	v_fmamk_f16 v60, v33, 0xbb9c, v9
	v_fmac_f16_e32 v90, 0xb8b4, v33
	v_add_f16_e32 v28, v28, v31
	v_fmac_f16_e32 v9, 0x3b9c, v33
	v_add_f16_e32 v31, v0, v19
	v_fma_f16 v33, -0.5, v34, v0
	v_sub_f16_e32 v34, v15, v24
	v_fmac_f16_e32 v56, 0x34f2, v89
	v_fmac_f16_e32 v3, 0x34f2, v89
	v_add_f16_e32 v39, v39, v38
	v_fmac_f16_e32 v58, 0x34f2, v36
	v_fmac_f16_e32 v60, 0x38b4, v37
	;; [unrolled: 1-line block ×4, first 2 shown]
	v_add_f16_e32 v31, v31, v17
	v_fmamk_f16 v36, v34, 0xbb9c, v33
	v_sub_f16_e32 v37, v16, v20
	v_sub_f16_e32 v38, v19, v17
	v_sub_f16_e32 v61, v26, v21
	v_fmac_f16_e32 v33, 0x3b9c, v34
	v_add_f16_e32 v89, v19, v26
	v_lshrrev_b32_e32 v8, 16, v0
	v_add_f16_e32 v31, v31, v21
	v_fmac_f16_e32 v36, 0xb8b4, v37
	v_add_f16_e32 v38, v38, v61
	v_fmac_f16_e32 v33, 0x38b4, v37
	v_fmac_f16_e32 v0, -0.5, v89
	v_sub_f16_e32 v61, v17, v19
	v_sub_f16_e32 v89, v21, v26
	v_fmac_f16_e32 v60, 0x34f2, v28
	v_fmac_f16_e32 v9, 0x34f2, v28
	v_add_f16_e32 v28, v31, v26
	v_fmac_f16_e32 v36, 0x34f2, v38
	v_fmac_f16_e32 v33, 0x34f2, v38
	v_fmamk_f16 v31, v37, 0x3b9c, v0
	v_add_f16_e32 v38, v16, v20
	v_fmac_f16_e32 v0, 0xbb9c, v37
	v_sub_f16_e32 v19, v19, v26
	v_add_f16_e32 v26, v61, v89
	v_add_f16_e32 v61, v15, v24
	v_add_f16_e64 v22, v22, v160
	v_add_f16_e32 v37, v8, v15
	v_fma_f16 v38, -0.5, v38, v8
	v_fmac_f16_e32 v31, 0xb8b4, v34
	v_fmac_f16_e32 v0, 0x38b4, v34
	v_sub_f16_e32 v17, v17, v21
	v_fmac_f16_e32 v8, -0.5, v61
	v_add_f16_e64 v22, v22, v161
	v_add_f16_e32 v34, v37, v16
	v_fmamk_f16 v37, v19, 0x3b9c, v38
	v_fmac_f16_e32 v31, 0x34f2, v26
	v_fmac_f16_e32 v0, 0x34f2, v26
	v_sub_f16_e32 v26, v15, v16
	v_fmac_f16_e32 v38, 0xbb9c, v19
	v_fmamk_f16 v61, v17, 0xbb9c, v8
	v_sub_f16_e32 v15, v16, v15
	v_sub_f16_e32 v16, v20, v24
	v_fmac_f16_e32 v8, 0x3b9c, v17
	v_add_f16_e32 v22, v22, v121
	v_fmac_f16_e32 v37, 0x38b4, v17
	v_fmac_f16_e32 v38, 0xb8b4, v17
	;; [unrolled: 1-line block ×3, first 2 shown]
	v_add_f16_e32 v15, v15, v16
	v_fmac_f16_e32 v8, 0xb8b4, v19
	v_pack_b32_f16 v17, v18, v27
	v_pack_b32_f16 v18, v23, v30
	;; [unrolled: 1-line block ×4, first 2 shown]
	v_add_f16_e64 v70, v70, v135
	v_add_f16_e32 v78, v78, v94
	v_fmac_f16_e32 v61, 0x34f2, v15
	v_fmac_f16_e32 v8, 0x34f2, v15
	v_pack_b32_f16 v15, v22, v29
	v_pack_b32_f16 v10, v41, v45
	ds_store_b32 v96, v17 offset:1568
	ds_store_b32 v96, v18 offset:3136
	;; [unrolled: 1-line block ×4, first 2 shown]
	v_pack_b32_f16 v1, v40, v44
	v_pack_b32_f16 v6, v7, v13
	;; [unrolled: 1-line block ×3, first 2 shown]
	v_add_f16_e64 v70, v70, v129
	v_add_f16_e64 v78, v78, v140
	v_add_f16_e32 v80, v80, v97
	ds_store_2addr_b32 v96, v15, v10 offset1:56
	v_pack_b32_f16 v10, v35, v43
	ds_store_b32 v96, v1 offset:3360
	ds_store_b32 v96, v6 offset:4928
	;; [unrolled: 1-line block ×3, first 2 shown]
	v_pack_b32_f16 v1, v47, v73
	v_add_f16_e32 v21, v34, v20
	v_sub_f16_e32 v34, v24, v20
	v_pack_b32_f16 v7, v69, v14
	v_pack_b32_f16 v13, v46, v71
	;; [unrolled: 1-line block ×4, first 2 shown]
	ds_store_2addr_b32 v63, v10, v1 offset0:192 offset1:248
	v_pack_b32_f16 v1, v4, v79
	v_pack_b32_f16 v4, v82, v86
	;; [unrolled: 1-line block ×3, first 2 shown]
	v_add_f16_e32 v20, v26, v34
	ds_store_b32 v96, v7 offset:5152
	ds_store_b32 v96, v13 offset:6720
	ds_store_2addr_b32 v96, v6, v14 offset0:112 offset1:168
	v_pack_b32_f16 v6, v84, v87
	v_pack_b32_f16 v7, v81, v83
	v_pack_b32_f16 v10, v75, v85
	v_pack_b32_f16 v2, v2, v11
	ds_store_2addr_b32 v54, v1, v4 offset0:128 offset1:184
	ds_store_b32 v96, v5 offset:5376
	ds_store_b32 v96, v6 offset:6944
	v_pack_b32_f16 v4, v76, v91
	v_add_f16_e32 v16, v21, v24
	v_fmac_f16_e32 v37, 0x34f2, v20
	v_pack_b32_f16 v1, v72, v62
	ds_store_2addr_b32 v67, v7, v10 offset0:48 offset1:104
	v_pack_b32_f16 v5, v74, v88
	v_pack_b32_f16 v6, v55, v39
	;; [unrolled: 1-line block ×3, first 2 shown]
	v_fmac_f16_e32 v38, 0x34f2, v20
	ds_store_b32 v96, v2 offset:5600
	ds_store_b32 v96, v4 offset:7168
	v_pack_b32_f16 v2, v59, v90
	v_pack_b32_f16 v3, v3, v9
	;; [unrolled: 1-line block ×3, first 2 shown]
	ds_store_2addr_b32 v66, v1, v6 offset0:96 offset1:152
	v_pack_b32_f16 v1, v57, v58
	ds_store_2addr_b32 v68, v5, v7 offset0:112 offset1:168
	v_pack_b32_f16 v5, v36, v37
	v_pack_b32_f16 v6, v31, v61
	;; [unrolled: 1-line block ×4, first 2 shown]
	ds_store_b32 v96, v2 offset:7392
	ds_store_b32 v96, v3 offset:5824
	;; [unrolled: 1-line block ×3, first 2 shown]
	ds_store_2addr_b32 v67, v1, v5 offset0:160 offset1:216
	ds_store_b32 v96, v6 offset:4480
	ds_store_b32 v96, v0 offset:6048
	;; [unrolled: 1-line block ×3, first 2 shown]
	global_wb scope:SCOPE_SE
	s_wait_dscnt 0x0
	s_barrier_signal -1
	s_barrier_wait -1
	global_inv scope:SCOPE_SE
	ds_load_2addr_b32 v[3:4], v96 offset1:56
	v_lshrrev_b32_e32 v5, 16, v153
	v_lshrrev_b32_e32 v16, 16, v158
	;; [unrolled: 1-line block ×5, first 2 shown]
	s_wait_dscnt 0x0
	v_lshrrev_b32_e32 v2, 16, v3
	s_delay_alu instid0(VALU_DEP_1) | instskip(NEXT) | instid1(VALU_DEP_1)
	v_mul_f16_e32 v0, v5, v2
	v_fmac_f16_e64 v0, v153, v3
	v_mul_f16_e32 v3, v5, v3
	s_delay_alu instid0(VALU_DEP_2) | instskip(NEXT) | instid1(VALU_DEP_2)
	v_cvt_f32_f16_e32 v0, v0
	v_fma_f16 v2, v153, v2, -v3
	s_delay_alu instid0(VALU_DEP_2) | instskip(NEXT) | instid1(VALU_DEP_2)
	v_cvt_f64_f32_e32 v[0:1], v0
	v_cvt_f32_f16_e32 v2, v2
	s_delay_alu instid0(VALU_DEP_1) | instskip(SKIP_1) | instid1(VALU_DEP_3)
	v_cvt_f64_f32_e32 v[5:6], v2
	s_wait_alu 0xfffe
	v_mul_f64_e32 v[7:8], s[8:9], v[0:1]
	v_add_nc_u32_e32 v0, 0x600, v96
	ds_load_2addr_b32 v[2:3], v0 offset0:106 offset1:162
	v_mul_f64_e32 v[5:6], s[8:9], v[5:6]
	s_wait_dscnt 0x0
	v_lshrrev_b32_e32 v9, 16, v2
	s_delay_alu instid0(VALU_DEP_1) | instskip(NEXT) | instid1(VALU_DEP_1)
	v_mul_f16_e32 v0, v16, v9
	v_fmac_f16_e64 v0, v158, v2
	v_mul_f16_e32 v2, v16, v2
	v_and_or_b32 v1, 0x1ff, v8, v7
	v_lshrrev_b32_e32 v7, 8, v8
	v_bfe_u32 v10, v8, 20, 11
	v_cvt_f32_f16_e32 v0, v0
	v_fma_f16 v2, v158, v9, -v2
	v_cmp_ne_u32_e64 s0, 0, v1
	s_delay_alu instid0(VALU_DEP_4)
	v_sub_nc_u32_e32 v11, 0x3f1, v10
	v_and_or_b32 v5, 0x1ff, v6, v5
	v_lshrrev_b32_e32 v14, 8, v6
	s_wait_alu 0xf1ff
	v_cndmask_b32_e64 v1, 0, 1, s0
	v_bfe_u32 v15, v6, 20, 11
	v_med3_i32 v11, v11, 0, 13
	v_cmp_ne_u32_e64 s0, 0, v5
	v_add_nc_u32_e32 v16, 0xfffffc10, v10
	v_and_or_b32 v7, 0xffe, v7, v1
	v_cvt_f64_f32_e32 v[0:1], v0
	v_sub_nc_u32_e32 v9, 0x3f1, v15
	s_wait_alu 0xf1ff
	v_cndmask_b32_e64 v5, 0, 1, s0
	v_cvt_f32_f16_e32 v2, v2
	v_or_b32_e32 v12, 0x1000, v7
	v_add_nc_u32_e32 v19, 0xfffffc10, v15
	v_lshrrev_b32_e32 v6, 16, v6
	v_and_or_b32 v5, 0xffe, v14, v5
	v_med3_i32 v14, v9, 0, 13
	v_lshrrev_b32_e32 v13, v11, v12
	s_delay_alu instid0(VALU_DEP_1) | instskip(NEXT) | instid1(VALU_DEP_1)
	v_lshlrev_b32_e32 v11, v11, v13
	v_cmp_ne_u32_e64 s0, v11, v12
	s_wait_alu 0xf1ff
	s_delay_alu instid0(VALU_DEP_1) | instskip(SKIP_1) | instid1(VALU_DEP_2)
	v_cndmask_b32_e64 v11, 0, 1, s0
	v_cmp_gt_i32_e64 s0, 1, v16
	v_or_b32_e32 v10, v13, v11
	v_lshl_or_b32 v11, v16, 12, v7
	v_or_b32_e32 v13, 0x1000, v5
	s_wait_alu 0xf1ff
	s_delay_alu instid0(VALU_DEP_2) | instskip(SKIP_1) | instid1(VALU_DEP_3)
	v_cndmask_b32_e64 v17, v11, v10, s0
	v_cvt_f64_f32_e32 v[9:10], v2
	v_lshrrev_b32_e32 v18, v14, v13
	v_mul_f64_e32 v[11:12], s[8:9], v[0:1]
	s_delay_alu instid0(VALU_DEP_4) | instskip(SKIP_1) | instid1(VALU_DEP_4)
	v_and_b32_e32 v2, 7, v17
	v_lshrrev_b32_e32 v15, 2, v17
	v_lshlrev_b32_e32 v0, v14, v18
	v_lshl_or_b32 v17, v19, 12, v5
	s_delay_alu instid0(VALU_DEP_4)
	v_cmp_lt_i32_e64 s0, 5, v2
	v_cmp_eq_u32_e64 s1, 3, v2
	ds_load_2addr_b32 v[1:2], v68 offset0:84 offset1:140
	v_cmp_ne_u32_e64 s2, v0, v13
	v_mad_co_u64_u32 v[13:14], null, s6, v52, 0
	s_or_b32 s0, s1, s0
	s_wait_alu 0xfffe
	v_add_co_ci_u32_e64 v15, s0, 0, v15, s0
	v_cndmask_b32_e64 v0, 0, 1, s2
	v_cmp_ne_u32_e64 s0, 0, v7
	s_delay_alu instid0(VALU_DEP_2) | instskip(SKIP_1) | instid1(VALU_DEP_2)
	v_or_b32_e32 v0, v18, v0
	s_wait_alu 0xf1ff
	v_cndmask_b32_e64 v7, 0, 1, s0
	v_cmp_gt_i32_e64 s0, 1, v19
	s_delay_alu instid0(VALU_DEP_2) | instskip(SKIP_1) | instid1(VALU_DEP_2)
	v_lshl_or_b32 v7, v7, 9, 0x7c00
	s_wait_alu 0xf1ff
	v_cndmask_b32_e64 v17, v17, v0, s0
	v_cmp_gt_i32_e64 s0, 31, v16
	v_mov_b32_e32 v0, v14
	s_wait_dscnt 0x0
	v_lshrrev_b32_e32 v21, 16, v1
	v_and_b32_e32 v20, 7, v17
	s_wait_alu 0xf1ff
	v_cndmask_b32_e64 v18, 0x7c00, v15, s0
	v_cmp_eq_u32_e64 s0, 0x40f, v16
	v_mad_co_u64_u32 v[14:15], null, s7, v52, v[0:1]
	v_mul_f64_e32 v[9:10], s[8:9], v[9:10]
	v_cmp_eq_u32_e64 s1, 3, v20
	s_wait_alu 0xf1ff
	v_cndmask_b32_e64 v0, v18, v7, s0
	v_cmp_lt_i32_e64 s0, 5, v20
	v_mul_f16_e32 v7, v23, v21
	v_lshrrev_b32_e32 v18, 16, v8
	v_lshrrev_b32_e32 v8, 2, v17
	v_and_or_b32 v11, 0x1ff, v12, v11
	s_or_b32 s0, s1, s0
	v_fmac_f16_e64 v7, v156, v1
	v_lshrrev_b32_e32 v16, 8, v12
	s_wait_alu 0xfffe
	v_add_co_ci_u32_e64 v15, s0, 0, v8, s0
	v_cmp_ne_u32_e64 s0, 0, v11
	v_cvt_f32_f16_e32 v7, v7
	v_bfe_u32 v17, v12, 20, 11
	v_mul_f16_e32 v1, v23, v1
	v_lshrrev_b32_e32 v12, 16, v12
	s_wait_alu 0xf1ff
	v_cndmask_b32_e64 v11, 0, 1, s0
	v_cvt_f64_f32_e32 v[7:8], v7
	v_cmp_ne_u32_e64 s0, 0, v5
	v_fma_f16 v1, v156, v21, -v1
	v_and_or_b32 v21, 0x8000, v18, v0
	v_and_or_b32 v11, 0xffe, v16, v11
	v_sub_nc_u32_e32 v16, 0x3f1, v17
	s_wait_alu 0xf1ff
	v_cndmask_b32_e64 v5, 0, 1, s0
	v_cmp_gt_i32_e64 s0, 31, v19
	v_cvt_f32_f16_e32 v1, v1
	v_or_b32_e32 v20, 0x1000, v11
	v_med3_i32 v22, v16, 0, 13
	v_lshl_or_b32 v5, v5, 9, 0x7c00
	s_wait_alu 0xf1ff
	v_cndmask_b32_e64 v15, 0x7c00, v15, s0
	v_cmp_eq_u32_e64 s0, 0x40f, v19
	v_and_b32_e32 v21, 0xffff, v21
	v_lshrrev_b32_e32 v19, v22, v20
	s_mul_u64 s[6:7], s[4:5], 0x1ea
	s_wait_alu 0xf1ff
	v_cndmask_b32_e64 v5, v15, v5, s0
	v_and_or_b32 v9, 0x1ff, v10, v9
	v_lshlrev_b32_e32 v18, v22, v19
	v_mad_co_u64_u32 v[15:16], null, s4, v150, 0
	s_delay_alu instid0(VALU_DEP_4) | instskip(SKIP_1) | instid1(VALU_DEP_4)
	v_and_or_b32 v22, 0x8000, v6, v5
	v_cvt_f64_f32_e32 v[5:6], v1
	v_cmp_ne_u32_e64 s0, v18, v20
	v_lshrrev_b32_e32 v18, 8, v10
	v_add_nc_u32_e32 v20, 0xfffffc10, v17
	v_bfe_u32 v23, v10, 20, 11
	v_mov_b32_e32 v0, v16
	s_wait_alu 0xf1ff
	v_cndmask_b32_e64 v1, 0, 1, s0
	v_cmp_ne_u32_e64 s0, 0, v9
	v_lshl_or_b32 v24, v20, 12, v11
	v_lshl_or_b32 v21, v22, 16, v21
	s_wait_alu 0xfffe
	s_lshl_b64 s[6:7], s[6:7], 2
	v_mad_co_u64_u32 v[16:17], null, s5, v150, v[0:1]
	v_cndmask_b32_e64 v9, 0, 1, s0
	v_or_b32_e32 v19, v19, v1
	v_cmp_gt_i32_e64 s0, 1, v20
	ds_load_2addr_b32 v[0:1], v53 offset0:190 offset1:246
	v_and_or_b32 v9, 0xffe, v18, v9
	v_mul_f64_e32 v[17:18], s[8:9], v[7:8]
	v_sub_nc_u32_e32 v7, 0x3f1, v23
	s_wait_alu 0xf1ff
	v_cndmask_b32_e64 v19, v24, v19, s0
	v_or_b32_e32 v24, 0x1000, v9
	s_delay_alu instid0(VALU_DEP_3) | instskip(SKIP_1) | instid1(VALU_DEP_4)
	v_med3_i32 v25, v7, 0, 13
	v_lshlrev_b64_e32 v[7:8], 2, v[13:14]
	v_and_b32_e32 v22, 7, v19
	v_lshlrev_b64_e32 v[13:14], 2, v[15:16]
	v_lshrrev_b32_e32 v16, 2, v19
	v_lshrrev_b32_e32 v26, v25, v24
	v_add_co_u32 v7, s0, s10, v7
	s_wait_alu 0xf1ff
	v_add_co_ci_u32_e64 v8, s0, s11, v8, s0
	s_delay_alu instid0(VALU_DEP_3)
	v_lshlrev_b32_e32 v15, v25, v26
	v_cmp_lt_i32_e64 s0, 5, v22
	v_cmp_eq_u32_e64 s1, 3, v22
	s_wait_dscnt 0x0
	v_lshrrev_b32_e32 v19, 16, v0
	v_add_nc_u32_e32 v22, 0xfffffc10, v23
	v_cmp_ne_u32_e64 s2, v15, v24
	v_mul_f64_e32 v[5:6], s[8:9], v[5:6]
	s_or_b32 s0, s1, s0
	v_mul_f16_e32 v23, v28, v19
	s_wait_alu 0xfffe
	v_add_co_ci_u32_e64 v16, s0, 0, v16, s0
	v_cndmask_b32_e64 v15, 0, 1, s2
	v_cmp_ne_u32_e64 s0, 0, v11
	v_lshl_or_b32 v24, v22, 12, v9
	v_fmac_f16_e64 v23, v154, v0
	v_mul_f16_e32 v0, v28, v0
	v_or_b32_e32 v15, v26, v15
	s_wait_alu 0xf1ff
	v_cndmask_b32_e64 v11, 0, 1, s0
	v_cmp_gt_i32_e64 s0, 1, v22
	v_fma_f16 v0, v154, v19, -v0
	v_and_or_b32 v17, 0x1ff, v18, v17
	s_delay_alu instid0(VALU_DEP_4)
	v_lshl_or_b32 v11, v11, 9, 0x7c00
	s_wait_alu 0xf1ff
	v_cndmask_b32_e64 v24, v24, v15, s0
	v_cmp_gt_i32_e64 s0, 31, v20
	v_cvt_f32_f16_e32 v15, v23
	v_lshrrev_b32_e32 v26, 8, v18
	v_bfe_u32 v27, v18, 20, 11
	v_and_b32_e32 v25, 7, v24
	s_wait_alu 0xf1ff
	v_cndmask_b32_e64 v23, 0x7c00, v16, s0
	v_cmp_ne_u32_e64 s0, 0, v17
	v_cvt_f64_f32_e32 v[15:16], v15
	v_cvt_f32_f16_e32 v0, v0
	v_cmp_eq_u32_e64 s1, 3, v25
	v_lshrrev_b32_e32 v18, 16, v18
	s_wait_alu 0xf1ff
	v_cndmask_b32_e64 v17, 0, 1, s0
	v_cmp_eq_u32_e64 s0, 0x40f, v20
	v_sub_nc_u32_e32 v20, 0x3f1, v27
	v_add_nc_u32_e32 v27, 0xfffffc10, v27
	s_delay_alu instid0(VALU_DEP_4)
	v_and_or_b32 v17, 0xffe, v26, v17
	s_wait_alu 0xf1ff
	v_cndmask_b32_e64 v11, v23, v11, s0
	v_cmp_lt_i32_e64 s0, 5, v25
	v_med3_i32 v20, v20, 0, 13
	v_and_or_b32 v5, 0x1ff, v6, v5
	v_bfe_u32 v19, v6, 20, 11
	v_and_or_b32 v23, 0x8000, v12, v11
	v_lshrrev_b32_e32 v11, 2, v24
	s_or_b32 s0, s1, s0
	v_or_b32_e32 v12, 0x1000, v17
	v_cmp_eq_u32_e64 s2, 0x40f, v27
	s_wait_alu 0xfffe
	v_add_co_ci_u32_e64 v11, s0, 0, v11, s0
	v_cmp_ne_u32_e64 s0, 0, v9
	v_lshrrev_b32_e32 v24, v20, v12
	s_wait_alu 0xf1ff
	s_delay_alu instid0(VALU_DEP_2) | instskip(SKIP_1) | instid1(VALU_DEP_2)
	v_cndmask_b32_e64 v9, 0, 1, s0
	v_cmp_gt_i32_e64 s0, 31, v22
	v_lshl_or_b32 v9, v9, 9, 0x7c00
	s_wait_alu 0xf1ff
	s_delay_alu instid0(VALU_DEP_2)
	v_cndmask_b32_e64 v25, 0x7c00, v11, s0
	v_lshlrev_b32_e32 v11, v20, v24
	v_cmp_ne_u32_e64 s0, 0, v5
	v_lshrrev_b32_e32 v20, 8, v6
	v_lshrrev_b32_e32 v6, 16, v6
	s_wait_alu 0xf1ff
	s_delay_alu instid0(VALU_DEP_3)
	v_cndmask_b32_e64 v5, 0, 1, s0
	v_cmp_ne_u32_e64 s0, v11, v12
	v_mul_f64_e32 v[11:12], s[8:9], v[15:16]
	v_cvt_f64_f32_e32 v[15:16], v0
	v_lshl_or_b32 v0, v27, 12, v17
	v_and_or_b32 v5, 0xffe, v20, v5
	s_wait_alu 0xf1ff
	v_cndmask_b32_e64 v26, 0, 1, s0
	v_sub_nc_u32_e32 v20, 0x3f1, v19
	v_cmp_eq_u32_e64 s0, 0x40f, v22
	v_add_nc_u32_e32 v19, 0xfffffc10, v19
	s_delay_alu instid0(VALU_DEP_4)
	v_or_b32_e32 v24, v24, v26
	v_or_b32_e32 v26, 0x1000, v5
	v_med3_i32 v20, v20, 0, 13
	s_wait_alu 0xf1ff
	v_cndmask_b32_e64 v22, v25, v9, s0
	v_cmp_gt_i32_e64 s0, 1, v27
	v_lshrrev_b32_e32 v25, 16, v10
	s_wait_alu 0xf1ff
	s_delay_alu instid0(VALU_DEP_2) | instskip(SKIP_4) | instid1(VALU_DEP_3)
	v_cndmask_b32_e64 v0, v0, v24, s0
	v_lshrrev_b32_e32 v24, v20, v26
	v_add_co_u32 v9, s0, v7, v13
	s_wait_alu 0xf1ff
	v_add_co_ci_u32_e64 v10, s0, v8, v14, s0
	v_lshlrev_b32_e32 v20, v20, v24
	v_and_or_b32 v13, 0x8000, v25, v22
	v_and_b32_e32 v14, 0xffff, v23
	v_and_b32_e32 v22, 7, v0
	global_store_b32 v[9:10], v21, off
	v_cmp_ne_u32_e64 s1, v20, v26
	v_lshrrev_b32_e32 v0, 2, v0
	v_lshl_or_b32 v21, v13, 16, v14
	v_cmp_lt_i32_e64 s0, 5, v22
	v_lshrrev_b32_e32 v20, 16, v4
	s_wait_alu 0xf1ff
	v_cndmask_b32_e64 v13, 0, 1, s1
	v_cmp_eq_u32_e64 s1, 3, v22
	v_lshrrev_b32_e32 v26, 16, v146
	v_lshl_or_b32 v14, v19, 12, v5
	v_and_or_b32 v11, 0x1ff, v12, v11
	v_or_b32_e32 v13, v24, v13
	s_or_b32 s0, s1, s0
	v_mul_f16_e32 v22, v26, v20
	s_wait_alu 0xfffe
	v_add_co_ci_u32_e64 v0, s0, 0, v0, s0
	v_cmp_gt_i32_e64 s0, 1, v19
	v_bfe_u32 v25, v12, 20, 11
	v_fmac_f16_e64 v22, v146, v4
	v_mul_f16_e32 v4, v26, v4
	s_wait_alu 0xf1ff
	v_cndmask_b32_e64 v23, v14, v13, s0
	v_mul_f64_e32 v[13:14], s[8:9], v[15:16]
	v_cmp_ne_u32_e64 s0, 0, v17
	v_cvt_f32_f16_e32 v15, v22
	v_lshrrev_b32_e32 v22, 8, v12
	v_and_b32_e32 v24, 7, v23
	v_fma_f16 v4, v146, v20, -v4
	s_wait_alu 0xf1ff
	v_cndmask_b32_e64 v17, 0, 1, s0
	v_cmp_ne_u32_e64 s0, 0, v11
	v_cvt_f64_f32_e32 v[15:16], v15
	v_cmp_eq_u32_e64 s1, 3, v24
	v_lshrrev_b32_e32 v12, 16, v12
	v_lshl_or_b32 v17, v17, 9, 0x7c00
	s_wait_alu 0xf1ff
	v_cndmask_b32_e64 v11, 0, 1, s0
	v_cmp_gt_i32_e64 s0, 31, v27
	v_lshrrev_b32_e32 v27, 16, v141
	s_delay_alu instid0(VALU_DEP_3) | instskip(SKIP_1) | instid1(VALU_DEP_3)
	v_and_or_b32 v11, 0xffe, v22, v11
	s_wait_alu 0xf1ff
	v_cndmask_b32_e64 v0, 0x7c00, v0, s0
	v_sub_nc_u32_e32 v22, 0x3f1, v25
	v_cmp_lt_i32_e64 s0, 5, v24
	v_or_b32_e32 v24, 0x1000, v11
	s_delay_alu instid0(VALU_DEP_4) | instskip(SKIP_3) | instid1(VALU_DEP_3)
	v_cndmask_b32_e64 v0, v0, v17, s2
	v_lshrrev_b32_e32 v17, 2, v23
	v_med3_i32 v22, v22, 0, 13
	s_or_b32 s0, s1, s0
	v_and_or_b32 v0, 0x8000, v18, v0
	s_wait_alu 0xfffe
	v_add_co_ci_u32_e64 v17, s0, 0, v17, s0
	v_lshrrev_b32_e32 v23, v22, v24
	v_cmp_gt_i32_e64 s0, 31, v19
	v_and_b32_e32 v0, 0xffff, v0
	s_delay_alu instid0(VALU_DEP_3) | instskip(SKIP_1) | instid1(VALU_DEP_3)
	v_lshlrev_b32_e32 v18, v22, v23
	s_wait_alu 0xf1ff
	v_cndmask_b32_e64 v17, 0x7c00, v17, s0
	v_cmp_ne_u32_e64 s0, 0, v5
	v_and_or_b32 v13, 0x1ff, v14, v13
	v_add_nc_u32_e32 v22, 0xfffffc10, v25
	v_lshrrev_b32_e32 v25, 8, v14
	v_bfe_u32 v26, v14, 20, 11
	s_wait_alu 0xf1ff
	v_cndmask_b32_e64 v5, 0, 1, s0
	v_cmp_ne_u32_e64 s0, v18, v24
	v_cvt_f32_f16_e32 v24, v4
	v_lshrrev_b32_e32 v14, 16, v14
	s_delay_alu instid0(VALU_DEP_4)
	v_lshl_or_b32 v20, v5, 9, 0x7c00
	s_wait_alu 0xf1ff
	v_cndmask_b32_e64 v18, 0, 1, s0
	v_cmp_ne_u32_e64 s0, 0, v13
	v_mul_f64_e32 v[4:5], s[8:9], v[15:16]
	v_cvt_f64_f32_e32 v[15:16], v24
	s_delay_alu instid0(VALU_DEP_4) | instskip(SKIP_4) | instid1(VALU_DEP_2)
	v_or_b32_e32 v18, v23, v18
	v_lshl_or_b32 v23, v22, 12, v11
	s_wait_alu 0xf1ff
	v_cndmask_b32_e64 v13, 0, 1, s0
	v_cmp_gt_i32_e64 s0, 1, v22
	v_and_or_b32 v13, 0xffe, v25, v13
	s_wait_alu 0xf1ff
	s_delay_alu instid0(VALU_DEP_2) | instskip(SKIP_3) | instid1(VALU_DEP_4)
	v_cndmask_b32_e64 v18, v23, v18, s0
	v_sub_nc_u32_e32 v23, 0x3f1, v26
	v_cmp_eq_u32_e64 s0, 0x40f, v19
	v_lshrrev_b32_e32 v25, 16, v149
	v_and_b32_e32 v19, 7, v18
	s_delay_alu instid0(VALU_DEP_4)
	v_med3_i32 v23, v23, 0, 13
	s_wait_alu 0xf1ff
	v_cndmask_b32_e64 v17, v17, v20, s0
	v_or_b32_e32 v20, 0x1000, v13
	v_add_co_u32 v9, s0, v9, s6
	s_wait_alu 0xf1ff
	v_add_co_ci_u32_e64 v10, s0, s7, v10, s0
	v_and_or_b32 v6, 0x8000, v6, v17
	v_lshrrev_b32_e32 v17, v23, v20
	v_cmp_lt_i32_e64 s0, 5, v19
	v_cmp_eq_u32_e64 s1, 3, v19
	v_lshrrev_b32_e32 v18, 2, v18
	v_lshl_or_b32 v0, v6, 16, v0
	v_lshlrev_b32_e32 v19, v23, v17
	global_store_b32 v[9:10], v21, off
	s_or_b32 s0, s1, s0
	s_wait_alu 0xfffe
	v_add_co_ci_u32_e64 v6, s0, 0, v18, s0
	v_cmp_ne_u32_e64 s0, v19, v20
	v_add_nc_u32_e32 v19, 0xfffffc10, v26
	v_and_or_b32 v4, 0x1ff, v5, v4
	v_mul_f64_e32 v[15:16], s[8:9], v[15:16]
	v_lshrrev_b32_e32 v20, 8, v5
	s_wait_alu 0xf1ff
	v_cndmask_b32_e64 v18, 0, 1, s0
	v_cmp_ne_u32_e64 s0, 0, v11
	v_bfe_u32 v21, v5, 20, 11
	v_lshrrev_b32_e32 v26, 16, v147
	v_lshrrev_b32_e32 v5, 16, v5
	v_or_b32_e32 v17, v17, v18
	s_wait_alu 0xf1ff
	v_cndmask_b32_e64 v11, 0, 1, s0
	v_cmp_gt_i32_e64 s0, 31, v22
	v_lshl_or_b32 v18, v19, 12, v13
	s_delay_alu instid0(VALU_DEP_3) | instskip(SKIP_1) | instid1(VALU_DEP_3)
	v_lshl_or_b32 v11, v11, 9, 0x7c00
	s_wait_alu 0xf1ff
	v_cndmask_b32_e64 v6, 0x7c00, v6, s0
	v_cmp_gt_i32_e64 s0, 1, v19
	s_wait_alu 0xf1ff
	s_delay_alu instid0(VALU_DEP_1) | instskip(SKIP_3) | instid1(VALU_DEP_2)
	v_cndmask_b32_e64 v17, v18, v17, s0
	v_cmp_ne_u32_e64 s0, 0, v4
	v_lshrrev_b32_e32 v18, 16, v3
	s_wait_alu 0xf1ff
	v_cndmask_b32_e64 v4, 0, 1, s0
	v_cmp_eq_u32_e64 s0, 0x40f, v22
	s_delay_alu instid0(VALU_DEP_3) | instskip(NEXT) | instid1(VALU_DEP_3)
	v_mul_f16_e32 v23, v25, v18
	v_and_or_b32 v20, 0xffe, v20, v4
	s_wait_alu 0xf1ff
	s_delay_alu instid0(VALU_DEP_3)
	v_cndmask_b32_e64 v6, v6, v11, s0
	v_and_b32_e32 v11, 7, v17
	v_sub_nc_u32_e32 v4, 0x3f1, v21
	v_fmac_f16_e64 v23, v149, v3
	v_lshrrev_b32_e32 v17, 2, v17
	v_or_b32_e32 v22, 0x1000, v20
	v_cmp_lt_i32_e64 s0, 5, v11
	v_cmp_eq_u32_e64 s1, 3, v11
	v_med3_i32 v4, v4, 0, 13
	v_cvt_f32_f16_e32 v23, v23
	v_and_or_b32 v6, 0x8000, v12, v6
	v_mul_f16_e32 v3, v25, v3
	s_or_b32 s0, s1, s0
	v_lshrrev_b32_e32 v24, v4, v22
	s_wait_alu 0xfffe
	v_add_co_ci_u32_e64 v17, s0, 0, v17, s0
	v_cmp_ne_u32_e64 s0, 0, v13
	v_cvt_f64_f32_e32 v[11:12], v23
	v_lshlrev_b32_e32 v4, v4, v24
	v_and_or_b32 v15, 0x1ff, v16, v15
	v_fma_f16 v3, v149, v18, -v3
	s_wait_alu 0xf1ff
	v_cndmask_b32_e64 v13, 0, 1, s0
	v_cmp_gt_i32_e64 s0, 31, v19
	v_add_nc_u32_e32 v21, 0xfffffc10, v21
	v_and_b32_e32 v6, 0xffff, v6
	v_cvt_f32_f16_e32 v3, v3
	v_lshl_or_b32 v13, v13, 9, 0x7c00
	s_wait_alu 0xf1ff
	v_cndmask_b32_e64 v17, 0x7c00, v17, s0
	v_cmp_ne_u32_e64 s0, v4, v22
	v_lshl_or_b32 v18, v21, 12, v20
	v_bfe_u32 v22, v16, 20, 11
	s_wait_alu 0xf1ff
	s_delay_alu instid0(VALU_DEP_3) | instskip(SKIP_3) | instid1(VALU_DEP_2)
	v_cndmask_b32_e64 v4, 0, 1, s0
	v_cmp_eq_u32_e64 s0, 0x40f, v19
	v_lshrrev_b32_e32 v19, 8, v16
	s_wait_alu 0xf1ff
	v_cndmask_b32_e64 v13, v17, v13, s0
	v_cmp_ne_u32_e64 s0, 0, v15
	v_or_b32_e32 v17, v24, v4
	v_cvt_f64_f32_e32 v[3:4], v3
	s_delay_alu instid0(VALU_DEP_4) | instskip(SKIP_3) | instid1(VALU_DEP_3)
	v_and_or_b32 v13, 0x8000, v14, v13
	s_wait_alu 0xf1ff
	v_cndmask_b32_e64 v15, 0, 1, s0
	v_cmp_gt_i32_e64 s0, 1, v21
	v_lshl_or_b32 v6, v13, 16, v6
	s_delay_alu instid0(VALU_DEP_3) | instskip(SKIP_1) | instid1(VALU_DEP_3)
	v_and_or_b32 v15, 0xffe, v19, v15
	s_wait_alu 0xf1ff
	v_cndmask_b32_e64 v17, v18, v17, s0
	v_sub_nc_u32_e32 v18, 0x3f1, v22
	v_add_co_u32 v9, s0, v9, s6
	v_or_b32_e32 v19, 0x1000, v15
	s_delay_alu instid0(VALU_DEP_4) | instskip(NEXT) | instid1(VALU_DEP_4)
	v_and_b32_e32 v14, 7, v17
	v_med3_i32 v18, v18, 0, 13
	s_wait_alu 0xf1ff
	v_add_co_ci_u32_e64 v10, s0, s7, v10, s0
	v_mul_f64_e32 v[11:12], s[8:9], v[11:12]
	v_cmp_lt_i32_e64 s0, 5, v14
	v_lshrrev_b32_e32 v23, v18, v19
	v_cmp_eq_u32_e64 s1, 3, v14
	v_lshrrev_b32_e32 v17, 2, v17
	global_store_b32 v[9:10], v0, off
	v_add_co_u32 v13, s2, v9, s6
	v_lshlrev_b32_e32 v18, v18, v23
	s_or_b32 s0, s1, s0
	v_add_co_ci_u32_e64 v14, s2, s7, v10, s2
	s_wait_alu 0xfffe
	v_add_co_ci_u32_e64 v24, s0, 0, v17, s0
	v_cmp_ne_u32_e64 s0, v18, v19
	v_add_nc_u32_e32 v19, 0xfffffc10, v22
	v_lshrrev_b32_e32 v22, 16, v2
	global_store_b32 v[13:14], v6, off
	s_wait_alu 0xf1ff
	v_cndmask_b32_e64 v17, 0, 1, s0
	v_cmp_ne_u32_e64 s0, 0, v20
	v_lshl_or_b32 v25, v19, 12, v15
	s_delay_alu instid0(VALU_DEP_3) | instskip(SKIP_1) | instid1(VALU_DEP_3)
	v_or_b32_e32 v23, v23, v17
	s_wait_alu 0xf1ff
	v_cndmask_b32_e64 v20, 0, 1, s0
	v_cmp_gt_i32_e64 s0, 31, v21
	v_mul_f64_e32 v[17:18], s[8:9], v[3:4]
	v_mul_f16_e32 v3, v26, v22
	s_delay_alu instid0(VALU_DEP_4)
	v_lshl_or_b32 v20, v20, 9, 0x7c00
	s_wait_alu 0xf1ff
	v_cndmask_b32_e64 v4, 0x7c00, v24, s0
	v_cmp_gt_i32_e64 s0, 1, v19
	v_fmac_f16_e64 v3, v147, v2
	v_mul_f16_e32 v2, v26, v2
	v_lshrrev_b32_e32 v24, 16, v144
	s_wait_alu 0xf1ff
	v_cndmask_b32_e64 v23, v25, v23, s0
	v_cmp_eq_u32_e64 s0, 0x40f, v21
	v_cvt_f32_f16_e32 v0, v3
	v_lshrrev_b32_e32 v6, 8, v12
	v_fma_f16 v2, v147, v22, -v2
	v_and_b32_e32 v9, 7, v23
	s_wait_alu 0xf1ff
	v_cndmask_b32_e64 v4, v4, v20, s0
	s_delay_alu instid0(VALU_DEP_3) | instskip(NEXT) | instid1(VALU_DEP_3)
	v_cvt_f32_f16_e32 v2, v2
	v_cmp_lt_i32_e64 s0, 5, v9
	s_delay_alu instid0(VALU_DEP_3)
	v_and_or_b32 v20, 0x8000, v5, v4
	v_and_or_b32 v5, 0x1ff, v12, v11
	v_cvt_f64_f32_e32 v[3:4], v0
	v_cmp_eq_u32_e64 s1, 3, v9
	v_lshrrev_b32_e32 v0, 2, v23
	v_bfe_u32 v9, v12, 20, 11
	v_cmp_ne_u32_e64 s2, 0, v5
	s_delay_alu instid0(VALU_DEP_4) | instskip(SKIP_2) | instid1(VALU_DEP_2)
	s_or_b32 s0, s1, s0
	s_wait_alu 0xfffe
	v_add_co_ci_u32_e64 v0, s0, 0, v0, s0
	v_cndmask_b32_e64 v5, 0, 1, s2
	v_cmp_ne_u32_e64 s0, 0, v15
	v_add_nc_u32_e32 v22, 0xfffffc10, v9
	s_delay_alu instid0(VALU_DEP_3)
	v_and_or_b32 v11, 0xffe, v6, v5
	v_sub_nc_u32_e32 v5, 0x3f1, v9
	s_wait_alu 0xf1ff
	v_cndmask_b32_e64 v6, 0, 1, s0
	v_cmp_gt_i32_e64 s0, 31, v19
	v_and_or_b32 v17, 0x1ff, v18, v17
	v_or_b32_e32 v10, 0x1000, v11
	v_med3_i32 v5, v5, 0, 13
	v_lshl_or_b32 v6, v6, 9, 0x7c00
	s_wait_alu 0xf1ff
	v_cndmask_b32_e64 v0, 0x7c00, v0, s0
	v_cmp_eq_u32_e64 s0, 0x40f, v19
	v_bfe_u32 v21, v18, 20, 11
	v_lshrrev_b32_e32 v15, v5, v10
	v_cmp_eq_u32_e64 s2, 0x40f, v22
	s_wait_alu 0xf1ff
	v_cndmask_b32_e64 v0, v0, v6, s0
	v_cmp_ne_u32_e64 s0, 0, v17
	v_lshlrev_b32_e32 v19, v5, v15
	v_cvt_f64_f32_e32 v[5:6], v2
	v_lshrrev_b32_e32 v2, 8, v18
	v_lshrrev_b32_e32 v18, 16, v18
	s_wait_alu 0xf1ff
	v_cndmask_b32_e64 v17, 0, 1, s0
	v_cmp_ne_u32_e64 s0, v19, v10
	v_mul_f64_e32 v[9:10], s[8:9], v[3:4]
	v_lshrrev_b32_e32 v3, 16, v16
	s_delay_alu instid0(VALU_DEP_4)
	v_and_or_b32 v17, 0xffe, v2, v17
	s_wait_alu 0xf1ff
	v_cndmask_b32_e64 v19, 0, 1, s0
	v_sub_nc_u32_e32 v2, 0x3f1, v21
	v_cmp_gt_i32_e64 s0, 1, v22
	v_and_or_b32 v0, 0x8000, v3, v0
	v_or_b32_e32 v16, 0x1000, v17
	v_or_b32_e32 v4, v15, v19
	v_lshl_or_b32 v15, v22, 12, v11
	v_med3_i32 v2, v2, 0, 13
	v_and_b32_e32 v3, 0xffff, v20
	s_wait_alu 0xf1ff
	s_delay_alu instid0(VALU_DEP_3) | instskip(NEXT) | instid1(VALU_DEP_3)
	v_cndmask_b32_e64 v4, v15, v4, s0
	v_lshrrev_b32_e32 v15, v2, v16
	s_movk_i32 s0, 0xe9e8
	s_mov_b32 s1, -1
	v_lshl_or_b32 v19, v0, 16, v3
	s_wait_alu 0xfffe
	s_mul_u64 s[10:11], s[4:5], s[0:1]
	v_lshlrev_b32_e32 v2, v2, v15
	v_and_b32_e32 v0, 7, v4
	s_wait_alu 0xfffe
	v_add_co_u32 v13, s0, v13, s10
	s_wait_alu 0xf1ff
	v_add_co_ci_u32_e64 v14, s0, s11, v14, s0
	v_cmp_ne_u32_e64 s1, v2, v16
	v_cmp_lt_i32_e64 s0, 5, v0
	v_lshrrev_b32_e32 v3, 2, v4
	v_add_nc_u32_e32 v16, 0xfffffc10, v21
	global_store_b32 v[13:14], v19, off
	s_wait_alu 0xf1ff
	v_cndmask_b32_e64 v2, 0, 1, s1
	v_cmp_eq_u32_e64 s1, 3, v0
	v_lshrrev_b32_e32 v0, 16, v1
	v_mul_f64_e32 v[4:5], s[8:9], v[5:6]
	s_delay_alu instid0(VALU_DEP_4) | instskip(NEXT) | instid1(VALU_DEP_4)
	v_or_b32_e32 v2, v15, v2
	s_or_b32 s0, s1, s0
	v_lshl_or_b32 v15, v16, 12, v17
	s_wait_alu 0xfffe
	v_add_co_ci_u32_e64 v20, s0, 0, v3, s0
	v_cmp_gt_i32_e64 s0, 1, v16
	v_mul_f16_e32 v6, v24, v0
	v_lshrrev_b32_e32 v21, 8, v10
	v_bfe_u32 v23, v10, 20, 11
	s_wait_alu 0xf1ff
	v_cndmask_b32_e64 v15, v15, v2, s0
	v_and_or_b32 v2, 0x1ff, v10, v9
	v_cmp_ne_u32_e64 s0, 0, v11
	v_fmac_f16_e64 v6, v144, v1
	v_mul_f16_e32 v1, v24, v1
	v_and_b32_e32 v11, 7, v15
	v_lshrrev_b32_e32 v15, 2, v15
	s_wait_alu 0xf1ff
	v_cndmask_b32_e64 v9, 0, 1, s0
	v_cmp_ne_u32_e64 s0, 0, v2
	v_cvt_f32_f16_e32 v3, v6
	v_cmp_eq_u32_e64 s1, 3, v11
	v_lshrrev_b32_e32 v10, 16, v10
	v_lshl_or_b32 v9, v9, 9, 0x7c00
	s_wait_alu 0xf1ff
	v_cndmask_b32_e64 v6, 0, 1, s0
	v_cmp_gt_i32_e64 s0, 31, v22
	v_cvt_f64_f32_e32 v[2:3], v3
	s_delay_alu instid0(VALU_DEP_3)
	v_and_or_b32 v6, 0xffe, v21, v6
	v_sub_nc_u32_e32 v21, 0x3f1, v23
	s_wait_alu 0xf1ff
	v_cndmask_b32_e64 v20, 0x7c00, v20, s0
	v_cmp_lt_i32_e64 s0, 5, v11
	v_add_nc_u32_e32 v23, 0xfffffc10, v23
	v_or_b32_e32 v11, 0x1000, v6
	v_med3_i32 v21, v21, 0, 13
	v_cndmask_b32_e64 v9, v20, v9, s2
	s_or_b32 s0, s1, s0
	v_lshrrev_b32_e32 v20, 16, v12
	s_wait_alu 0xfffe
	v_add_co_ci_u32_e64 v15, s0, 0, v15, s0
	v_lshrrev_b32_e32 v12, v21, v11
	v_cmp_ne_u32_e64 s0, 0, v17
	v_and_or_b32 v4, 0x1ff, v5, v4
	v_bfe_u32 v22, v5, 20, 11
	v_lshl_or_b32 v25, v23, 12, v6
	v_lshlrev_b32_e32 v21, v21, v12
	s_wait_alu 0xf1ff
	v_cndmask_b32_e64 v17, 0, 1, s0
	v_cmp_gt_i32_e64 s0, 31, v16
	v_and_or_b32 v9, 0x8000, v20, v9
	s_delay_alu instid0(VALU_DEP_3) | instskip(SKIP_1) | instid1(VALU_DEP_3)
	v_lshl_or_b32 v17, v17, 9, 0x7c00
	s_wait_alu 0xf1ff
	v_cndmask_b32_e64 v15, 0x7c00, v15, s0
	v_cmp_ne_u32_e64 s0, v21, v11
	v_lshrrev_b32_e32 v21, 8, v5
	v_and_b32_e32 v9, 0xffff, v9
	s_wait_alu 0xf1ff
	s_delay_alu instid0(VALU_DEP_3) | instskip(SKIP_1) | instid1(VALU_DEP_2)
	v_cndmask_b32_e64 v11, 0, 1, s0
	v_cmp_ne_u32_e64 s0, 0, v4
	v_or_b32_e32 v24, v12, v11
	s_wait_alu 0xf1ff
	s_delay_alu instid0(VALU_DEP_2) | instskip(SKIP_2) | instid1(VALU_DEP_3)
	v_cndmask_b32_e64 v4, 0, 1, s0
	v_sub_nc_u32_e32 v11, 0x3f1, v22
	v_cmp_eq_u32_e64 s0, 0x40f, v16
	v_and_or_b32 v21, 0xffe, v21, v4
	v_fma_f16 v4, v144, v0, -v1
	v_mul_f64_e32 v[0:1], s[8:9], v[2:3]
	v_med3_i32 v26, v11, 0, 13
	s_wait_alu 0xf1ff
	v_cndmask_b32_e64 v15, v15, v17, s0
	v_or_b32_e32 v2, 0x1000, v21
	v_cvt_f32_f16_e32 v12, v4
	ds_load_2addr_b32 v[3:4], v96 offset0:112 offset1:168
	v_cmp_gt_i32_e64 s0, 1, v23
	v_and_or_b32 v15, 0x8000, v18, v15
	v_lshrrev_b32_e32 v16, v26, v2
	v_cvt_f64_f32_e32 v[11:12], v12
	v_add_nc_u32_e32 v18, 0xfffffc10, v22
	s_wait_alu 0xf1ff
	v_cndmask_b32_e64 v17, v25, v24, s0
	v_lshrrev_b32_e32 v25, 16, v138
	v_lshlrev_b32_e32 v20, v26, v16
	v_lshl_or_b32 v22, v15, 16, v9
	s_delay_alu instid0(VALU_DEP_4) | instskip(SKIP_1) | instid1(VALU_DEP_4)
	v_and_b32_e32 v19, 7, v17
	v_lshrrev_b32_e32 v17, 2, v17
	v_cmp_ne_u32_e64 s0, v20, v2
	s_delay_alu instid0(VALU_DEP_3) | instskip(SKIP_1) | instid1(VALU_DEP_2)
	v_cmp_eq_u32_e64 s1, 3, v19
	s_wait_alu 0xf1ff
	v_cndmask_b32_e64 v2, 0, 1, s0
	v_cmp_lt_i32_e64 s0, 5, v19
	s_wait_dscnt 0x0
	v_lshrrev_b32_e32 v19, 16, v3
	s_delay_alu instid0(VALU_DEP_3) | instskip(NEXT) | instid1(VALU_DEP_3)
	v_or_b32_e32 v2, v16, v2
	s_or_b32 s0, s1, s0
	s_delay_alu instid0(VALU_DEP_2)
	v_mul_f16_e32 v20, v25, v19
	s_wait_alu 0xfffe
	v_add_co_ci_u32_e64 v17, s0, 0, v17, s0
	v_lshl_or_b32 v16, v18, 12, v21
	v_cmp_gt_i32_e64 s0, 1, v18
	v_fmac_f16_e64 v20, v138, v3
	v_and_or_b32 v0, 0x1ff, v1, v0
	s_wait_alu 0xf1ff
	s_delay_alu instid0(VALU_DEP_3)
	v_cndmask_b32_e64 v2, v16, v2, s0
	v_cmp_gt_i32_e64 s0, 31, v23
	v_cvt_f32_f16_e32 v15, v20
	v_lshrrev_b32_e32 v20, 8, v1
	v_cmp_ne_u32_e64 s1, 0, v0
	v_bfe_u32 v24, v1, 20, 11
	s_wait_alu 0xf1ff
	v_cndmask_b32_e64 v9, 0x7c00, v17, s0
	v_and_b32_e32 v17, 7, v2
	v_mul_f64_e32 v[11:12], s[8:9], v[11:12]
	v_cmp_ne_u32_e64 s0, 0, v6
	v_cvt_f64_f32_e32 v[15:16], v15
	v_cndmask_b32_e64 v0, 0, 1, s1
	v_cmp_eq_u32_e64 s1, 3, v17
	v_lshrrev_b32_e32 v2, 2, v2
	s_wait_alu 0xf1ff
	v_cndmask_b32_e64 v6, 0, 1, s0
	v_cmp_lt_i32_e64 s0, 5, v17
	v_and_or_b32 v0, 0xffe, v20, v0
	v_sub_nc_u32_e32 v17, 0x3f1, v24
	s_delay_alu instid0(VALU_DEP_4) | instskip(NEXT) | instid1(VALU_DEP_4)
	v_lshl_or_b32 v6, v6, 9, 0x7c00
	s_or_b32 s0, s1, s0
	s_wait_alu 0xfffe
	v_add_co_ci_u32_e64 v2, s0, 0, v2, s0
	v_cmp_ne_u32_e64 s0, 0, v21
	v_or_b32_e32 v21, 0x1000, v0
	v_med3_i32 v17, v17, 0, 13
	s_wait_alu 0xf1ff
	s_delay_alu instid0(VALU_DEP_3) | instskip(SKIP_1) | instid1(VALU_DEP_2)
	v_cndmask_b32_e64 v20, 0, 1, s0
	v_cmp_gt_i32_e64 s0, 31, v18
	v_lshl_or_b32 v20, v20, 9, 0x7c00
	s_wait_alu 0xf1ff
	s_delay_alu instid0(VALU_DEP_2) | instskip(SKIP_3) | instid1(VALU_DEP_2)
	v_cndmask_b32_e64 v2, 0x7c00, v2, s0
	v_cmp_eq_u32_e64 s0, 0x40f, v23
	v_lshrrev_b32_e32 v23, v17, v21
	s_wait_alu 0xf1ff
	v_cndmask_b32_e64 v9, v9, v6, s0
	v_cmp_eq_u32_e64 s0, 0x40f, v18
	s_delay_alu instid0(VALU_DEP_3)
	v_lshlrev_b32_e32 v17, v17, v23
	v_lshrrev_b32_e32 v18, 16, v5
	v_and_or_b32 v11, 0x1ff, v12, v11
	s_wait_alu 0xf1ff
	v_cndmask_b32_e64 v2, v2, v20, s0
	v_add_co_u32 v5, s0, v13, s6
	s_wait_alu 0xf1ff
	v_add_co_ci_u32_e64 v6, s0, s7, v14, s0
	v_cmp_ne_u32_e64 s0, v17, v21
	v_and_or_b32 v17, 0x8000, v10, v9
	v_mul_f64_e32 v[9:10], s[8:9], v[15:16]
	v_and_or_b32 v18, 0x8000, v18, v2
	v_mul_f16_e32 v2, v25, v3
	s_wait_alu 0xf1ff
	v_cndmask_b32_e64 v13, 0, 1, s0
	v_cmp_ne_u32_e64 s0, 0, v11
	v_add_nc_u32_e32 v20, 0xfffffc10, v24
	v_lshrrev_b32_e32 v16, 8, v12
	v_fma_f16 v15, v138, v19, -v2
	v_bfe_u32 v19, v12, 20, 11
	s_wait_alu 0xf1ff
	v_cndmask_b32_e64 v11, 0, 1, s0
	v_or_b32_e32 v13, v23, v13
	v_lshl_or_b32 v14, v20, 12, v0
	v_cmp_gt_i32_e64 s0, 1, v20
	ds_load_2addr_b32 v[2:3], v67 offset0:90 offset1:146
	v_cvt_f32_f16_e32 v15, v15
	v_and_or_b32 v11, 0xffe, v16, v11
	v_sub_nc_u32_e32 v16, 0x3f1, v19
	s_wait_alu 0xf1ff
	v_cndmask_b32_e64 v21, v14, v13, s0
	global_store_b32 v[5:6], v22, off
	v_cvt_f64_f32_e32 v[13:14], v15
	v_and_b32_e32 v15, 0xffff, v17
	v_or_b32_e32 v23, 0x1000, v11
	v_med3_i32 v16, v16, 0, 13
	v_and_b32_e32 v17, 7, v21
	v_lshrrev_b32_e32 v21, 2, v21
	v_lshl_or_b32 v18, v18, 16, v15
	v_add_nc_u32_e32 v19, 0xfffffc10, v19
	v_lshrrev_b32_e32 v15, v16, v23
	v_cmp_lt_i32_e64 s0, 5, v17
	v_cmp_eq_u32_e64 s1, 3, v17
	v_add_co_u32 v5, s2, v5, s6
	s_delay_alu instid0(VALU_DEP_4)
	v_lshlrev_b32_e32 v16, v16, v15
	s_wait_dscnt 0x0
	v_lshrrev_b32_e32 v17, 16, v2
	s_or_b32 s0, s1, s0
	v_add_co_ci_u32_e64 v6, s2, s7, v6, s2
	s_wait_alu 0xfffe
	v_add_co_ci_u32_e64 v21, s0, 0, v21, s0
	v_cmp_ne_u32_e64 s0, v16, v23
	v_mul_f16_e32 v22, v27, v17
	v_and_or_b32 v9, 0x1ff, v10, v9
	v_lshrrev_b32_e32 v24, 8, v10
	v_bfe_u32 v25, v10, 20, 11
	s_wait_alu 0xf1ff
	v_cndmask_b32_e64 v16, 0, 1, s0
	v_cmp_ne_u32_e64 s0, 0, v0
	v_fmac_f16_e64 v22, v141, v2
	global_store_b32 v[5:6], v18, off
	v_mul_f16_e32 v2, v27, v2
	v_or_b32_e32 v23, v15, v16
	s_wait_alu 0xf1ff
	v_cndmask_b32_e64 v0, 0, 1, s0
	v_cmp_ne_u32_e64 s0, 0, v9
	v_cvt_f32_f16_e32 v15, v22
	v_lshl_or_b32 v22, v19, 12, v11
	v_fma_f16 v2, v141, v17, -v2
	v_lshl_or_b32 v0, v0, 9, 0x7c00
	s_wait_alu 0xf1ff
	v_cndmask_b32_e64 v9, 0, 1, s0
	v_cmp_gt_i32_e64 s0, 1, v19
	v_cvt_f64_f32_e32 v[15:16], v15
	v_mul_f64_e32 v[13:14], s[8:9], v[13:14]
	v_cvt_f32_f16_e32 v2, v2
	v_and_or_b32 v9, 0xffe, v24, v9
	s_wait_alu 0xf1ff
	v_cndmask_b32_e64 v22, v22, v23, s0
	v_sub_nc_u32_e32 v23, 0x3f1, v25
	v_cmp_gt_i32_e64 s0, 31, v20
	v_lshrrev_b32_e32 v12, 16, v12
	v_or_b32_e32 v26, 0x1000, v9
	v_and_b32_e32 v24, 7, v22
	v_med3_i32 v23, v23, 0, 13
	s_wait_alu 0xf1ff
	v_cndmask_b32_e64 v21, 0x7c00, v21, s0
	v_cmp_eq_u32_e64 s0, 0x40f, v20
	v_lshrrev_b32_e32 v20, 16, v1
	v_cmp_eq_u32_e64 s1, 3, v24
	v_lshrrev_b32_e32 v18, v23, v26
	v_lshrrev_b32_e32 v1, 2, v22
	s_wait_alu 0xf1ff
	v_cndmask_b32_e64 v0, v21, v0, s0
	v_cmp_lt_i32_e64 s0, 5, v24
	v_lshrrev_b32_e32 v29, 16, v10
	v_lshlrev_b32_e32 v21, v23, v18
	s_delay_alu instid0(VALU_DEP_4) | instskip(NEXT) | instid1(VALU_DEP_4)
	v_and_or_b32 v0, 0x8000, v20, v0
	s_or_b32 s0, s1, s0
	s_wait_alu 0xfffe
	v_add_co_ci_u32_e64 v1, s0, 0, v1, s0
	v_cmp_ne_u32_e64 s0, v21, v26
	v_add_nc_u32_e32 v21, 0xfffffc10, v25
	v_and_b32_e32 v0, 0xffff, v0
	s_wait_alu 0xf1ff
	s_delay_alu instid0(VALU_DEP_3) | instskip(SKIP_2) | instid1(VALU_DEP_3)
	v_cndmask_b32_e64 v17, 0, 1, s0
	v_cmp_ne_u32_e64 s0, 0, v11
	v_lshl_or_b32 v23, v21, 12, v9
	v_or_b32_e32 v22, v18, v17
	v_cvt_f64_f32_e32 v[17:18], v2
	s_wait_alu 0xf1ff
	v_cndmask_b32_e64 v11, 0, 1, s0
	v_cmp_gt_i32_e64 s0, 31, v19
	v_mul_f64_e32 v[15:16], s[8:9], v[15:16]
	v_and_or_b32 v13, 0x1ff, v14, v13
	v_bfe_u32 v24, v14, 20, 11
	v_lshl_or_b32 v2, v11, 9, 0x7c00
	s_wait_alu 0xf1ff
	v_cndmask_b32_e64 v1, 0x7c00, v1, s0
	v_cmp_gt_i32_e64 s0, 1, v21
	s_wait_alu 0xf1ff
	s_delay_alu instid0(VALU_DEP_1) | instskip(SKIP_2) | instid1(VALU_DEP_3)
	v_cndmask_b32_e64 v11, v23, v22, s0
	v_cmp_eq_u32_e64 s0, 0x40f, v19
	v_lshrrev_b32_e32 v23, 8, v14
	v_and_b32_e32 v22, 7, v11
	s_wait_alu 0xf1ff
	s_delay_alu instid0(VALU_DEP_3)
	v_cndmask_b32_e64 v19, v1, v2, s0
	ds_load_2addr_b32 v[1:2], v65 offset0:68 offset1:124
	v_cmp_ne_u32_e64 s0, 0, v13
	v_lshrrev_b32_e32 v11, 2, v11
	v_cmp_eq_u32_e64 s1, 3, v22
	v_and_or_b32 v12, 0x8000, v12, v19
	v_sub_nc_u32_e32 v19, 0x3f1, v24
	s_wait_alu 0xf1ff
	v_cndmask_b32_e64 v13, 0, 1, s0
	v_cmp_lt_i32_e64 s0, 5, v22
	v_lshl_or_b32 v25, v12, 16, v0
	v_med3_i32 v19, v19, 0, 13
	s_delay_alu instid0(VALU_DEP_4) | instskip(NEXT) | instid1(VALU_DEP_4)
	v_and_or_b32 v13, 0xffe, v23, v13
	s_or_b32 s0, s1, s0
	s_wait_alu 0xfffe
	v_add_co_ci_u32_e64 v11, s0, 0, v11, s0
	s_delay_alu instid0(VALU_DEP_2) | instskip(SKIP_3) | instid1(VALU_DEP_3)
	v_or_b32_e32 v20, 0x1000, v13
	v_cmp_gt_i32_e64 s0, 31, v21
	s_wait_dscnt 0x0
	v_lshrrev_b32_e32 v22, 16, v1
	v_lshrrev_b32_e32 v23, v19, v20
	s_wait_alu 0xf1ff
	v_cndmask_b32_e64 v0, 0x7c00, v11, s0
	v_mul_f64_e32 v[11:12], s[8:9], v[17:18]
	v_cmp_ne_u32_e64 s0, 0, v9
	v_mul_f16_e32 v26, v30, v22
	v_lshlrev_b32_e32 v19, v19, v23
	v_and_or_b32 v15, 0x1ff, v16, v15
	s_wait_alu 0xf1ff
	v_cndmask_b32_e64 v9, 0, 1, s0
	v_fmac_f16_e64 v26, v139, v1
	v_cmp_ne_u32_e64 s0, v19, v20
	v_add_nc_u32_e32 v19, 0xfffffc10, v24
	v_lshrrev_b32_e32 v20, 8, v16
	v_bfe_u32 v24, v16, 20, 11
	v_cvt_f32_f16_e32 v18, v26
	s_wait_alu 0xf1ff
	v_cndmask_b32_e64 v17, 0, 1, s0
	v_cmp_ne_u32_e64 s0, 0, v15
	v_lshl_or_b32 v26, v19, 12, v13
	v_lshl_or_b32 v9, v9, 9, 0x7c00
	v_mul_f16_e32 v1, v30, v1
	v_or_b32_e32 v23, v23, v17
	s_wait_alu 0xf1ff
	v_cndmask_b32_e64 v15, 0, 1, s0
	v_cvt_f64_f32_e32 v[17:18], v18
	v_cmp_gt_i32_e64 s0, 1, v19
	v_fma_f16 v1, v139, v22, -v1
	v_lshrrev_b32_e32 v30, 16, v136
	v_and_or_b32 v15, 0xffe, v20, v15
	v_sub_nc_u32_e32 v20, 0x3f1, v24
	s_wait_alu 0xf1ff
	v_cndmask_b32_e64 v23, v26, v23, s0
	v_add_co_u32 v5, s0, v5, s6
	v_or_b32_e32 v26, 0x1000, v15
	v_med3_i32 v20, v20, 0, 13
	s_wait_alu 0xf1ff
	v_add_co_ci_u32_e64 v6, s0, s7, v6, s0
	v_and_b32_e32 v28, 7, v23
	v_cmp_eq_u32_e64 s0, 0x40f, v21
	v_lshrrev_b32_e32 v27, v20, v26
	v_cvt_f32_f16_e32 v1, v1
	v_lshrrev_b32_e32 v16, 16, v16
	v_cmp_eq_u32_e64 s1, 3, v28
	s_wait_alu 0xf1ff
	v_cndmask_b32_e64 v21, v0, v9, s0
	v_cmp_lt_i32_e64 s0, 5, v28
	v_lshrrev_b32_e32 v9, 2, v23
	v_lshlrev_b32_e32 v0, v20, v27
	v_and_or_b32 v10, 0x1ff, v12, v11
	v_add_nc_u32_e32 v20, 0xfffffc10, v24
	s_or_b32 s0, s1, s0
	v_lshrrev_b32_e32 v24, 8, v12
	s_wait_alu 0xfffe
	v_add_co_ci_u32_e64 v11, s0, 0, v9, s0
	v_cmp_ne_u32_e64 s2, v0, v26
	v_cmp_ne_u32_e64 s0, 0, v10
	v_lshl_or_b32 v22, v20, 12, v15
	v_bfe_u32 v26, v12, 20, 11
	s_wait_alu 0xf1ff
	v_cndmask_b32_e64 v0, 0, 1, s2
	v_cndmask_b32_e64 v23, 0, 1, s0
	v_cmp_ne_u32_e64 s0, 0, v13
	v_mul_f64_e32 v[9:10], s[8:9], v[17:18]
	s_delay_alu instid0(VALU_DEP_4)
	v_or_b32_e32 v0, v27, v0
	v_cvt_f64_f32_e32 v[17:18], v1
	s_wait_alu 0xf1ff
	v_cndmask_b32_e64 v13, 0, 1, s0
	v_cmp_gt_i32_e64 s0, 1, v20
	v_and_or_b32 v23, 0xffe, v24, v23
	v_sub_nc_u32_e32 v24, 0x3f1, v26
	s_delay_alu instid0(VALU_DEP_4)
	v_lshl_or_b32 v13, v13, 9, 0x7c00
	s_wait_alu 0xf1ff
	v_cndmask_b32_e64 v22, v22, v0, s0
	v_cmp_gt_i32_e64 s0, 31, v19
	v_or_b32_e32 v28, 0x1000, v23
	v_med3_i32 v24, v24, 0, 13
	ds_load_2addr_b32 v[0:1], v64 offset0:46 offset1:102
	v_and_b32_e32 v27, 7, v22
	s_wait_alu 0xf1ff
	v_cndmask_b32_e64 v11, 0x7c00, v11, s0
	v_cmp_eq_u32_e64 s0, 0x40f, v19
	v_lshrrev_b32_e32 v19, v24, v28
	v_cmp_eq_u32_e64 s1, 3, v27
	s_wait_alu 0xf1ff
	s_delay_alu instid0(VALU_DEP_3) | instskip(SKIP_3) | instid1(VALU_DEP_3)
	v_cndmask_b32_e64 v11, v11, v13, s0
	v_lshrrev_b32_e32 v13, 16, v14
	v_and_or_b32 v14, 0x8000, v29, v21
	v_cmp_lt_i32_e64 s0, 5, v27
	v_and_or_b32 v11, 0x8000, v13, v11
	v_lshrrev_b32_e32 v13, 2, v22
	s_delay_alu instid0(VALU_DEP_4)
	v_and_b32_e32 v21, 0xffff, v14
	v_lshlrev_b32_e32 v14, v24, v19
	s_or_b32 s0, s1, s0
	v_add_nc_u32_e32 v24, 0xfffffc10, v26
	s_wait_alu 0xfffe
	v_add_co_ci_u32_e64 v13, s0, 0, v13, s0
	v_cmp_ne_u32_e64 s0, v14, v28
	s_wait_dscnt 0x0
	v_lshrrev_b32_e32 v22, 16, v0
	v_lshl_or_b32 v28, v24, 12, v23
	v_and_or_b32 v9, 0x1ff, v10, v9
	v_lshl_or_b32 v21, v11, 16, v21
	s_wait_alu 0xf1ff
	v_cndmask_b32_e64 v14, 0, 1, s0
	v_cmp_gt_i32_e64 s0, 31, v20
	v_mul_f16_e32 v27, v30, v22
	s_delay_alu instid0(VALU_DEP_3) | instskip(SKIP_1) | instid1(VALU_DEP_3)
	v_or_b32_e32 v19, v19, v14
	s_wait_alu 0xf1ff
	v_cndmask_b32_e64 v26, 0x7c00, v13, s0
	v_cmp_ne_u32_e64 s0, 0, v15
	v_mul_f64_e32 v[13:14], s[8:9], v[17:18]
	v_fmac_f16_e64 v27, v136, v0
	v_mul_f16_e32 v0, v30, v0
	v_lshrrev_b32_e32 v30, 16, v120
	s_wait_alu 0xf1ff
	v_cndmask_b32_e64 v15, 0, 1, s0
	v_cmp_gt_i32_e64 s0, 1, v24
	v_cvt_f32_f16_e32 v17, v27
	v_lshrrev_b32_e32 v27, 8, v10
	v_fma_f16 v0, v136, v22, -v0
	v_lshl_or_b32 v15, v15, 9, 0x7c00
	s_wait_alu 0xf1ff
	v_cndmask_b32_e64 v19, v28, v19, s0
	v_cmp_ne_u32_e64 s0, 0, v9
	v_bfe_u32 v28, v10, 20, 11
	v_cvt_f64_f32_e32 v[17:18], v17
	v_cvt_f32_f16_e32 v0, v0
	v_and_b32_e32 v29, 7, v19
	s_wait_alu 0xf1ff
	v_cndmask_b32_e64 v9, 0, 1, s0
	v_cmp_eq_u32_e64 s0, 0x40f, v20
	v_lshrrev_b32_e32 v11, 2, v19
	v_cmp_eq_u32_e64 s1, 3, v29
	s_delay_alu instid0(VALU_DEP_4)
	v_and_or_b32 v9, 0xffe, v27, v9
	v_sub_nc_u32_e32 v27, 0x3f1, v28
	s_wait_alu 0xf1ff
	v_cndmask_b32_e64 v15, v26, v15, s0
	v_cmp_lt_i32_e64 s0, 5, v29
	v_or_b32_e32 v20, 0x1000, v9
	v_med3_i32 v26, v27, 0, 13
	s_delay_alu instid0(VALU_DEP_4) | instskip(NEXT) | instid1(VALU_DEP_4)
	v_and_or_b32 v19, 0x8000, v16, v15
	s_or_b32 s0, s1, s0
	s_wait_alu 0xfffe
	v_add_co_ci_u32_e64 v11, s0, 0, v11, s0
	v_lshrrev_b32_e32 v15, v26, v20
	v_cmp_ne_u32_e64 s0, 0, v23
	v_and_b32_e32 v19, 0xffff, v19
	s_delay_alu instid0(VALU_DEP_3) | instskip(SKIP_1) | instid1(VALU_DEP_3)
	v_lshlrev_b32_e32 v23, v26, v15
	s_wait_alu 0xf1ff
	v_cndmask_b32_e64 v16, 0, 1, s0
	v_cmp_gt_i32_e64 s0, 31, v24
	v_and_or_b32 v13, 0x1ff, v14, v13
	v_lshrrev_b32_e32 v26, 16, v12
	s_delay_alu instid0(VALU_DEP_4)
	v_lshl_or_b32 v16, v16, 9, 0x7c00
	s_wait_alu 0xf1ff
	v_cndmask_b32_e64 v11, 0x7c00, v11, s0
	v_cmp_ne_u32_e64 s0, v23, v20
	v_lshrrev_b32_e32 v23, 8, v14
	s_wait_alu 0xf1ff
	s_delay_alu instid0(VALU_DEP_2) | instskip(SKIP_4) | instid1(VALU_DEP_3)
	v_cndmask_b32_e64 v20, 0, 1, s0
	v_cmp_eq_u32_e64 s0, 0x40f, v24
	v_bfe_u32 v24, v14, 20, 11
	v_lshrrev_b32_e32 v14, 16, v14
	s_wait_alu 0xf1ff
	v_cndmask_b32_e64 v22, v11, v16, s0
	v_cmp_ne_u32_e64 s0, 0, v13
	v_or_b32_e32 v11, v15, v20
	v_add_nc_u32_e32 v20, 0xfffffc10, v28
	v_mul_f64_e32 v[15:16], s[8:9], v[17:18]
	v_cvt_f64_f32_e32 v[17:18], v0
	s_wait_alu 0xf1ff
	v_cndmask_b32_e64 v13, 0, 1, s0
	v_and_or_b32 v22, 0x8000, v26, v22
	v_lshl_or_b32 v0, v20, 12, v9
	v_cmp_gt_i32_e64 s0, 1, v20
	s_delay_alu instid0(VALU_DEP_4)
	v_and_or_b32 v13, 0xffe, v23, v13
	v_sub_nc_u32_e32 v23, 0x3f1, v24
	v_lshl_or_b32 v19, v22, 16, v19
	s_wait_alu 0xf1ff
	v_cndmask_b32_e64 v0, v0, v11, s0
	v_add_co_u32 v11, s0, v5, s10
	v_or_b32_e32 v27, 0x1000, v13
	v_med3_i32 v23, v23, 0, 13
	s_wait_alu 0xf1ff
	v_add_co_ci_u32_e64 v12, s0, s11, v6, s0
	v_and_b32_e32 v28, 7, v0
	global_store_b32 v[5:6], v25, off
	global_store_b32 v[11:12], v21, off
	v_lshrrev_b32_e32 v26, v23, v27
	v_lshrrev_b32_e32 v0, 2, v0
	v_cmp_lt_i32_e64 s0, 5, v28
	v_cmp_eq_u32_e64 s1, 3, v28
	v_add_nc_u32_e32 v21, 0xfffffc10, v24
	v_lshlrev_b32_e32 v5, v23, v26
	v_lshrrev_b32_e32 v22, 16, v4
	s_delay_alu instid0(VALU_DEP_4) | instskip(NEXT) | instid1(VALU_DEP_3)
	s_or_b32 s0, s1, s0
	v_lshl_or_b32 v6, v21, 12, v13
	s_delay_alu instid0(VALU_DEP_3)
	v_cmp_ne_u32_e64 s2, v5, v27
	s_wait_alu 0xfffe
	v_add_co_ci_u32_e64 v0, s0, 0, v0, s0
	v_cmp_ne_u32_e64 s0, 0, v9
	v_lshrrev_b32_e32 v27, 16, v3
	s_wait_alu 0xf1ff
	v_cndmask_b32_e64 v5, 0, 1, s2
	s_delay_alu instid0(VALU_DEP_3) | instskip(SKIP_1) | instid1(VALU_DEP_3)
	v_cndmask_b32_e64 v9, 0, 1, s0
	v_cmp_gt_i32_e64 s0, 1, v21
	v_or_b32_e32 v5, v26, v5
	v_lshrrev_b32_e32 v26, 16, v132
	v_and_or_b32 v15, 0x1ff, v16, v15
	v_lshl_or_b32 v9, v9, 9, 0x7c00
	v_bfe_u32 v25, v16, 20, 11
	s_wait_alu 0xf1ff
	v_cndmask_b32_e64 v23, v6, v5, s0
	v_mul_f64_e32 v[5:6], s[8:9], v[17:18]
	v_cmp_gt_i32_e64 s0, 31, v20
	v_mul_f16_e32 v17, v26, v22
	v_lshrrev_b32_e32 v18, 8, v16
	v_and_b32_e32 v24, 7, v23
	v_lshrrev_b32_e32 v16, 16, v16
	s_wait_alu 0xf1ff
	v_cndmask_b32_e64 v0, 0x7c00, v0, s0
	v_cmp_ne_u32_e64 s0, 0, v15
	v_fmac_f16_e64 v17, v132, v4
	v_cmp_eq_u32_e64 s1, 3, v24
	v_mul_f16_e32 v4, v26, v4
	s_wait_alu 0xf1ff
	v_cndmask_b32_e64 v15, 0, 1, s0
	v_cmp_eq_u32_e64 s0, 0x40f, v20
	v_cvt_f32_f16_e32 v17, v17
	v_lshrrev_b32_e32 v20, 2, v23
	v_fma_f16 v4, v132, v22, -v4
	v_and_or_b32 v15, 0xffe, v18, v15
	s_wait_alu 0xf1ff
	v_cndmask_b32_e64 v0, v0, v9, s0
	v_cmp_lt_i32_e64 s0, 5, v24
	v_cvt_f64_f32_e32 v[17:18], v17
	v_sub_nc_u32_e32 v9, 0x3f1, v25
	v_or_b32_e32 v23, 0x1000, v15
	v_cvt_f32_f16_e32 v4, v4
	s_or_b32 s0, s1, s0
	v_lshrrev_b32_e32 v22, 16, v10
	s_wait_alu 0xfffe
	v_add_co_ci_u32_e64 v20, s0, 0, v20, s0
	v_med3_i32 v9, v9, 0, 13
	v_cmp_ne_u32_e64 s0, 0, v13
	v_and_or_b32 v0, 0x8000, v22, v0
	s_delay_alu instid0(VALU_DEP_3) | instskip(SKIP_1) | instid1(VALU_DEP_3)
	v_lshrrev_b32_e32 v24, v9, v23
	s_wait_alu 0xf1ff
	v_cndmask_b32_e64 v13, 0, 1, s0
	v_cmp_gt_i32_e64 s0, 31, v21
	v_and_b32_e32 v0, 0xffff, v0
	v_lshlrev_b32_e32 v9, v9, v24
	s_delay_alu instid0(VALU_DEP_4)
	v_lshl_or_b32 v13, v13, 9, 0x7c00
	s_wait_alu 0xf1ff
	v_cndmask_b32_e64 v20, 0x7c00, v20, s0
	v_cmp_eq_u32_e64 s0, 0x40f, v21
	v_and_or_b32 v10, 0x1ff, v6, v5
	v_cvt_f64_f32_e32 v[4:5], v4
	v_lshrrev_b32_e32 v21, 8, v6
	s_wait_alu 0xf1ff
	v_cndmask_b32_e64 v13, v20, v13, s0
	v_cmp_ne_u32_e64 s0, v9, v23
	v_add_nc_u32_e32 v20, 0xfffffc10, v25
	v_bfe_u32 v23, v6, 20, 11
	v_lshrrev_b32_e32 v6, 16, v6
	v_and_or_b32 v26, 0x8000, v14, v13
	s_wait_alu 0xf1ff
	v_cndmask_b32_e64 v9, 0, 1, s0
	v_cmp_ne_u32_e64 s0, 0, v10
	v_sub_nc_u32_e32 v25, 0x3f1, v23
	v_lshl_or_b32 v0, v26, 16, v0
	s_delay_alu instid0(VALU_DEP_4) | instskip(SKIP_4) | instid1(VALU_DEP_3)
	v_or_b32_e32 v9, v24, v9
	s_wait_alu 0xf1ff
	v_cndmask_b32_e64 v10, 0, 1, s0
	v_lshl_or_b32 v24, v20, 12, v15
	v_cmp_gt_i32_e64 s0, 1, v20
	v_and_or_b32 v21, 0xffe, v21, v10
	s_wait_alu 0xf1ff
	s_delay_alu instid0(VALU_DEP_2)
	v_cndmask_b32_e64 v24, v24, v9, s0
	v_mul_f64_e32 v[9:10], s[8:9], v[17:18]
	v_med3_i32 v18, v25, 0, 13
	v_or_b32_e32 v17, 0x1000, v21
	v_add_co_u32 v11, s0, v11, s6
	v_and_b32_e32 v25, 7, v24
	s_wait_alu 0xf1ff
	v_add_co_ci_u32_e64 v12, s0, s7, v12, s0
	v_lshrrev_b32_e32 v22, v18, v17
	s_delay_alu instid0(VALU_DEP_3) | instskip(SKIP_2) | instid1(VALU_DEP_4)
	v_cmp_lt_i32_e64 s0, 5, v25
	v_cmp_eq_u32_e64 s1, 3, v25
	v_lshrrev_b32_e32 v25, 16, v133
	v_lshlrev_b32_e32 v13, v18, v22
	v_lshrrev_b32_e32 v18, 2, v24
	v_mul_f64_e32 v[4:5], s[8:9], v[4:5]
	s_or_b32 s0, s1, s0
	v_mul_f16_e32 v14, v25, v27
	v_cmp_ne_u32_e64 s2, v13, v17
	s_wait_alu 0xfffe
	v_add_co_ci_u32_e64 v18, s0, 0, v18, s0
	v_add_nc_u32_e32 v17, 0xfffffc10, v23
	v_fmac_f16_e64 v14, v133, v3
	s_wait_alu 0xf1ff
	v_cndmask_b32_e64 v13, 0, 1, s2
	v_cmp_ne_u32_e64 s0, 0, v15
	v_mul_f16_e32 v3, v25, v3
	v_cvt_f32_f16_e32 v14, v14
	s_delay_alu instid0(VALU_DEP_4)
	v_or_b32_e32 v13, v22, v13
	v_lshl_or_b32 v22, v17, 12, v21
	s_wait_alu 0xf1ff
	v_cndmask_b32_e64 v15, 0, 1, s0
	v_cmp_gt_i32_e64 s0, 1, v17
	v_fma_f16 v3, v133, v27, -v3
	s_delay_alu instid0(VALU_DEP_3) | instskip(SKIP_1) | instid1(VALU_DEP_3)
	v_lshl_or_b32 v15, v15, 9, 0x7c00
	s_wait_alu 0xf1ff
	v_cndmask_b32_e64 v22, v22, v13, s0
	v_cvt_f64_f32_e32 v[13:14], v14
	v_cmp_gt_i32_e64 s0, 31, v20
	v_and_or_b32 v9, 0x1ff, v10, v9
	s_delay_alu instid0(VALU_DEP_4)
	v_and_b32_e32 v23, 7, v22
	v_lshrrev_b32_e32 v22, 2, v22
	s_wait_alu 0xf1ff
	v_cndmask_b32_e64 v18, 0x7c00, v18, s0
	v_cmp_eq_u32_e64 s0, 0x40f, v20
	v_cmp_ne_u32_e64 s1, 0, v9
	v_bfe_u32 v20, v10, 20, 11
	s_wait_alu 0xf1ff
	s_delay_alu instid0(VALU_DEP_3)
	v_cndmask_b32_e64 v15, v18, v15, s0
	v_cmp_lt_i32_e64 s0, 5, v23
	v_cndmask_b32_e64 v9, 0, 1, s1
	v_cmp_eq_u32_e64 s1, 3, v23
	v_lshrrev_b32_e32 v18, 8, v10
	v_and_or_b32 v24, 0x8000, v16, v15
	v_and_or_b32 v4, 0x1ff, v5, v4
	v_lshrrev_b32_e32 v26, 8, v5
	s_or_b32 s0, s1, s0
	v_and_or_b32 v9, 0xffe, v18, v9
	s_wait_alu 0xfffe
	v_add_co_ci_u32_e64 v22, s0, 0, v22, s0
	v_sub_nc_u32_e32 v18, 0x3f1, v20
	v_cmp_gt_i32_e64 s0, 31, v17
	v_or_b32_e32 v23, 0x1000, v9
	v_bfe_u32 v27, v5, 20, 11
	v_add_nc_u32_e32 v20, 0xfffffc10, v20
	v_med3_i32 v18, v18, 0, 13
	s_wait_alu 0xf1ff
	v_cndmask_b32_e64 v15, 0x7c00, v22, s0
	v_cmp_ne_u32_e64 s0, 0, v21
	v_cvt_f32_f16_e32 v22, v3
	v_cmp_eq_u32_e64 s2, 0x40f, v20
	v_lshrrev_b32_e32 v16, v18, v23
	v_lshrrev_b32_e32 v10, 16, v10
	s_wait_alu 0xf1ff
	v_cndmask_b32_e64 v21, 0, 1, s0
	v_cmp_ne_u32_e64 s0, 0, v4
	v_mul_f64_e32 v[3:4], s[8:9], v[13:14]
	v_lshlrev_b32_e32 v18, v18, v16
	v_cvt_f64_f32_e32 v[13:14], v22
	v_lshl_or_b32 v21, v21, 9, 0x7c00
	s_wait_alu 0xf1ff
	v_cndmask_b32_e64 v25, 0, 1, s0
	v_cmp_ne_u32_e64 s0, v18, v23
	v_sub_nc_u32_e32 v23, 0x3f1, v27
	s_delay_alu instid0(VALU_DEP_3)
	v_and_or_b32 v22, 0xffe, v26, v25
	v_lshrrev_b32_e32 v26, 16, v130
	s_wait_alu 0xf1ff
	v_cndmask_b32_e64 v18, 0, 1, s0
	v_med3_i32 v23, v23, 0, 13
	v_cmp_eq_u32_e64 s0, 0x40f, v17
	v_or_b32_e32 v25, 0x1000, v22
	s_delay_alu instid0(VALU_DEP_4)
	v_or_b32_e32 v16, v16, v18
	v_lshl_or_b32 v18, v20, 12, v9
	s_wait_alu 0xf1ff
	v_cndmask_b32_e64 v17, v15, v21, s0
	v_cmp_gt_i32_e64 s0, 1, v20
	v_lshrrev_b32_e32 v21, v23, v25
	s_delay_alu instid0(VALU_DEP_3) | instskip(SKIP_1) | instid1(VALU_DEP_3)
	v_and_or_b32 v6, 0x8000, v6, v17
	s_wait_alu 0xf1ff
	v_cndmask_b32_e64 v18, v18, v16, s0
	s_delay_alu instid0(VALU_DEP_3) | instskip(SKIP_2) | instid1(VALU_DEP_4)
	v_lshlrev_b32_e32 v23, v23, v21
	v_add_co_u32 v15, s0, v11, s6
	v_and_b32_e32 v17, 0xffff, v24
	v_and_b32_e32 v24, 7, v18
	s_delay_alu instid0(VALU_DEP_4)
	v_cmp_ne_u32_e64 s1, v23, v25
	s_wait_alu 0xf1ff
	v_add_co_ci_u32_e64 v16, s0, s7, v12, s0
	global_store_b32 v[11:12], v19, off
	global_store_b32 v[15:16], v0, off
	v_lshl_or_b32 v0, v6, 16, v17
	v_cmp_lt_i32_e64 s0, 5, v24
	v_cndmask_b32_e64 v6, 0, 1, s1
	v_cmp_eq_u32_e64 s1, 3, v24
	v_lshrrev_b32_e32 v19, 16, v2
	v_lshrrev_b32_e32 v18, 2, v18
	v_add_nc_u32_e32 v17, 0xfffffc10, v27
	v_or_b32_e32 v6, v21, v6
	s_or_b32 s0, s1, s0
	v_mul_f16_e32 v23, v26, v19
	s_wait_alu 0xfffe
	v_add_co_ci_u32_e64 v18, s0, 0, v18, s0
	v_lshl_or_b32 v21, v17, 12, v22
	v_and_or_b32 v3, 0x1ff, v4, v3
	v_cmp_gt_i32_e64 s0, 1, v17
	v_mul_f64_e32 v[11:12], s[8:9], v[13:14]
	v_fmac_f16_e64 v23, v130, v2
	v_mul_f16_e32 v2, v26, v2
	v_lshrrev_b32_e32 v26, 16, v128
	s_wait_alu 0xf1ff
	v_cndmask_b32_e64 v6, v21, v6, s0
	v_cmp_ne_u32_e64 s0, 0, v3
	v_cvt_f32_f16_e32 v13, v23
	v_lshrrev_b32_e32 v21, 8, v4
	v_bfe_u32 v23, v4, 20, 11
	v_and_b32_e32 v24, 7, v6
	s_wait_alu 0xf1ff
	v_cndmask_b32_e64 v3, 0, 1, s0
	v_cmp_ne_u32_e64 s0, 0, v9
	v_cvt_f64_f32_e32 v[13:14], v13
	v_lshrrev_b32_e32 v6, 2, v6
	v_cmp_eq_u32_e64 s1, 3, v24
	v_and_or_b32 v21, 0xffe, v21, v3
	s_wait_alu 0xf1ff
	v_cndmask_b32_e64 v9, 0, 1, s0
	v_sub_nc_u32_e32 v3, 0x3f1, v23
	v_cmp_gt_i32_e64 s0, 31, v20
	v_fma_f16 v2, v130, v19, -v2
	v_or_b32_e32 v25, 0x1000, v21
	v_lshl_or_b32 v9, v9, 9, 0x7c00
	v_med3_i32 v3, v3, 0, 13
	s_wait_alu 0xf1ff
	v_cndmask_b32_e64 v18, 0x7c00, v18, s0
	v_cmp_lt_i32_e64 s0, 5, v24
	v_cvt_f32_f16_e32 v2, v2
	v_add_nc_u32_e32 v19, 0xfffffc10, v23
	v_lshrrev_b32_e32 v4, 16, v4
	v_cndmask_b32_e64 v9, v18, v9, s2
	v_lshrrev_b32_e32 v18, v3, v25
	s_or_b32 s0, s1, s0
	v_lshrrev_b32_e32 v27, 16, v125
	s_wait_alu 0xfffe
	v_add_co_ci_u32_e64 v6, s0, 0, v6, s0
	v_lshlrev_b32_e32 v3, v3, v18
	v_cmp_gt_i32_e64 s0, 31, v17
	v_and_or_b32 v20, 0x8000, v10, v9
	v_and_or_b32 v9, 0x1ff, v12, v11
	v_lshrrev_b32_e32 v23, 8, v12
	s_wait_alu 0xf1ff
	v_cndmask_b32_e64 v6, 0x7c00, v6, s0
	v_cmp_ne_u32_e64 s0, v3, v25
	v_bfe_u32 v24, v12, 20, 11
	v_lshl_or_b32 v25, v19, 12, v21
	s_wait_alu 0xf1ff
	s_delay_alu instid0(VALU_DEP_3) | instskip(SKIP_1) | instid1(VALU_DEP_2)
	v_cndmask_b32_e64 v3, 0, 1, s0
	v_cmp_ne_u32_e64 s0, 0, v22
	v_or_b32_e32 v18, v18, v3
	s_wait_alu 0xf1ff
	s_delay_alu instid0(VALU_DEP_2)
	v_cndmask_b32_e64 v11, 0, 1, s0
	v_cmp_ne_u32_e64 s0, 0, v9
	v_cvt_f64_f32_e32 v[2:3], v2
	v_mul_f64_e32 v[9:10], s[8:9], v[13:14]
	v_sub_nc_u32_e32 v13, 0x3f1, v24
	v_lshl_or_b32 v11, v11, 9, 0x7c00
	s_wait_alu 0xf1ff
	v_cndmask_b32_e64 v22, 0, 1, s0
	v_cmp_gt_i32_e64 s0, 1, v19
	v_med3_i32 v13, v13, 0, 13
	s_delay_alu instid0(VALU_DEP_3) | instskip(SKIP_1) | instid1(VALU_DEP_3)
	v_and_or_b32 v22, 0xffe, v23, v22
	s_wait_alu 0xf1ff
	v_cndmask_b32_e64 v14, v25, v18, s0
	v_cmp_eq_u32_e64 s0, 0x40f, v17
	v_lshrrev_b32_e32 v17, 16, v5
	v_or_b32_e32 v18, 0x1000, v22
	s_delay_alu instid0(VALU_DEP_4)
	v_and_b32_e32 v23, 7, v14
	s_wait_alu 0xf1ff
	v_cndmask_b32_e64 v11, v6, v11, s0
	v_add_co_u32 v5, s0, v15, s6
	v_lshrrev_b32_e32 v25, v13, v18
	s_wait_alu 0xf1ff
	v_add_co_ci_u32_e64 v6, s0, s7, v16, s0
	v_cmp_lt_i32_e64 s0, 5, v23
	v_cmp_eq_u32_e64 s1, 3, v23
	v_lshlrev_b32_e32 v13, v13, v25
	v_lshrrev_b32_e32 v14, 2, v14
	v_add_nc_u32_e32 v16, 0xfffffc10, v24
	v_and_or_b32 v11, 0x8000, v17, v11
	s_or_b32 s0, s1, s0
	v_cmp_ne_u32_e64 s2, v13, v18
	s_wait_alu 0xfffe
	v_add_co_ci_u32_e64 v14, s0, 0, v14, s0
	v_cmp_ne_u32_e64 s0, 0, v21
	v_lshrrev_b32_e32 v17, 16, v1
	s_wait_alu 0xf1ff
	v_cndmask_b32_e64 v13, 0, 1, s2
	v_and_b32_e32 v15, 0xffff, v20
	v_lshl_or_b32 v18, v16, 12, v22
	v_cndmask_b32_e64 v20, 0, 1, s0
	v_cmp_gt_i32_e64 s0, 1, v16
	v_or_b32_e32 v13, v25, v13
	v_mul_f64_e32 v[2:3], s[8:9], v[2:3]
	v_mul_f16_e32 v21, v26, v17
	v_and_or_b32 v9, 0x1ff, v10, v9
	v_bfe_u32 v25, v10, 20, 11
	s_wait_alu 0xf1ff
	v_cndmask_b32_e64 v18, v18, v13, s0
	v_cmp_gt_i32_e64 s0, 31, v19
	v_fmac_f16_e64 v21, v128, v1
	v_lshl_or_b32 v20, v20, 9, 0x7c00
	v_cmp_eq_u32_e64 s2, 0x40f, v19
	v_and_b32_e32 v24, 7, v18
	s_wait_alu 0xf1ff
	v_cndmask_b32_e64 v23, 0x7c00, v14, s0
	v_cmp_ne_u32_e64 s0, 0, v9
	v_cvt_f32_f16_e32 v13, v21
	v_lshrrev_b32_e32 v21, 8, v10
	v_cmp_eq_u32_e64 s1, 3, v24
	v_lshrrev_b32_e32 v18, 2, v18
	s_wait_alu 0xf1ff
	v_cndmask_b32_e64 v9, 0, 1, s0
	v_cmp_lt_i32_e64 s0, 5, v24
	v_cvt_f64_f32_e32 v[13:14], v13
	v_cndmask_b32_e64 v19, v23, v20, s2
	v_lshl_or_b32 v24, v11, 16, v15
	v_and_or_b32 v9, 0xffe, v21, v9
	v_sub_nc_u32_e32 v21, 0x3f1, v25
	s_or_b32 s0, s1, s0
	v_mul_f16_e32 v1, v26, v1
	s_wait_alu 0xfffe
	v_add_co_ci_u32_e64 v18, s0, 0, v18, s0
	v_or_b32_e32 v20, 0x1000, v9
	v_med3_i32 v21, v21, 0, 13
	v_cmp_ne_u32_e64 s0, 0, v22
	v_fma_f16 v1, v128, v17, -v1
	v_and_or_b32 v4, 0x8000, v4, v19
	v_lshrrev_b32_e32 v19, 16, v12
	v_lshrrev_b32_e32 v23, v21, v20
	s_wait_alu 0xf1ff
	v_cndmask_b32_e64 v22, 0, 1, s0
	v_cmp_gt_i32_e64 s0, 31, v16
	v_cvt_f32_f16_e32 v1, v1
	v_and_b32_e32 v4, 0xffff, v4
	v_lshlrev_b32_e32 v11, v21, v23
	v_lshl_or_b32 v22, v22, 9, 0x7c00
	s_wait_alu 0xf1ff
	v_cndmask_b32_e64 v18, 0x7c00, v18, s0
	v_cmp_eq_u32_e64 s0, 0x40f, v16
	v_and_or_b32 v2, 0x1ff, v3, v2
	v_lshrrev_b32_e32 v12, 8, v3
	v_bfe_u32 v17, v3, 20, 11
	s_wait_alu 0xf1ff
	v_cndmask_b32_e64 v18, v18, v22, s0
	v_cmp_ne_u32_e64 s0, v11, v20
	v_add_nc_u32_e32 v20, 0xfffffc10, v25
	v_sub_nc_u32_e32 v22, 0x3f1, v17
	v_add_nc_u32_e32 v17, 0xfffffc10, v17
	v_and_or_b32 v18, 0x8000, v19, v18
	s_wait_alu 0xf1ff
	v_cndmask_b32_e64 v11, 0, 1, s0
	v_cmp_ne_u32_e64 s0, 0, v2
	v_lshl_or_b32 v16, v20, 12, v9
	v_med3_i32 v22, v22, 0, 13
	s_delay_alu instid0(VALU_DEP_4) | instskip(SKIP_3) | instid1(VALU_DEP_2)
	v_or_b32_e32 v15, v23, v11
	s_wait_alu 0xf1ff
	v_cndmask_b32_e64 v2, 0, 1, s0
	v_cmp_gt_i32_e64 s0, 1, v20
	v_and_or_b32 v21, 0xffe, v12, v2
	v_mul_f64_e32 v[11:12], s[8:9], v[13:14]
	v_cvt_f64_f32_e32 v[13:14], v1
	ds_load_2addr_b32 v[1:2], v66 offset0:96 offset1:152
	s_wait_alu 0xf1ff
	v_cndmask_b32_e64 v23, v16, v15, s0
	v_or_b32_e32 v25, 0x1000, v21
	v_add_co_u32 v15, s0, v5, s10
	s_wait_alu 0xf1ff
	v_add_co_ci_u32_e64 v16, s0, s11, v6, s0
	s_delay_alu instid0(VALU_DEP_3)
	v_lshrrev_b32_e32 v19, v22, v25
	global_store_b32 v[5:6], v0, off
	global_store_b32 v[15:16], v24, off
	v_and_b32_e32 v26, 7, v23
	v_lshl_or_b32 v6, v18, 16, v4
	v_lshlrev_b32_e32 v0, v22, v19
	v_lshrrev_b32_e32 v4, 2, v23
	v_lshl_or_b32 v5, v17, 12, v21
	v_cmp_lt_i32_e64 s0, 5, v26
	v_cmp_eq_u32_e64 s1, 3, v26
	v_cmp_ne_u32_e64 s2, v0, v25
	v_lshrrev_b32_e32 v26, 16, v124
	s_wait_dscnt 0x0
	v_lshrrev_b32_e32 v18, 16, v1
	s_or_b32 s0, s1, s0
	v_cndmask_b32_e64 v0, 0, 1, s2
	s_wait_alu 0xfffe
	v_add_co_ci_u32_e64 v4, s0, 0, v4, s0
	v_cmp_gt_i32_e64 s0, 31, v20
	v_cmp_eq_u32_e64 s2, 0x40f, v20
	v_or_b32_e32 v0, v19, v0
	v_mul_f16_e32 v19, v26, v18
	s_wait_alu 0xf1ff
	v_cndmask_b32_e64 v22, 0x7c00, v4, s0
	v_cmp_gt_i32_e64 s0, 1, v17
	s_delay_alu instid0(VALU_DEP_3) | instskip(SKIP_2) | instid1(VALU_DEP_3)
	v_fmac_f16_e32 v19, v124, v1
	v_mul_f16_e32 v1, v26, v1
	s_wait_alu 0xf1ff
	v_cndmask_b32_e64 v0, v5, v0, s0
	v_and_or_b32 v11, 0x1ff, v12, v11
	v_cmp_ne_u32_e64 s0, 0, v9
	v_cvt_f32_f16_e32 v19, v19
	v_mul_f64_e32 v[4:5], s[8:9], v[13:14]
	v_and_b32_e32 v23, 7, v0
	v_lshrrev_b32_e32 v24, 8, v12
	s_wait_alu 0xf1ff
	v_cndmask_b32_e64 v9, 0, 1, s0
	v_cmp_ne_u32_e64 s0, 0, v11
	v_cvt_f64_f32_e32 v[13:14], v19
	v_bfe_u32 v19, v12, 20, 11
	v_cmp_eq_u32_e64 s1, 3, v23
	v_lshrrev_b32_e32 v0, 2, v0
	s_wait_alu 0xf1ff
	v_cndmask_b32_e64 v11, 0, 1, s0
	v_cmp_lt_i32_e64 s0, 5, v23
	v_lshl_or_b32 v9, v9, 9, 0x7c00
	v_sub_nc_u32_e32 v23, 0x3f1, v19
	v_fma_f16 v1, v124, v18, -v1
	v_and_or_b32 v11, 0xffe, v24, v11
	s_or_b32 s0, s1, s0
	v_cndmask_b32_e64 v20, v22, v9, s2
	s_wait_alu 0xfffe
	v_add_co_ci_u32_e64 v0, s0, 0, v0, s0
	v_or_b32_e32 v22, 0x1000, v11
	v_med3_i32 v9, v23, 0, 13
	v_cmp_ne_u32_e64 s0, 0, v21
	v_lshrrev_b32_e32 v24, 16, v10
	v_cvt_f32_f16_e32 v1, v1
	s_delay_alu instid0(VALU_DEP_4) | instskip(SKIP_3) | instid1(VALU_DEP_3)
	v_lshrrev_b32_e32 v23, v9, v22
	s_wait_alu 0xf1ff
	v_cndmask_b32_e64 v21, 0, 1, s0
	v_cmp_gt_i32_e64 s0, 31, v17
	v_lshlrev_b32_e32 v25, v9, v23
	s_delay_alu instid0(VALU_DEP_3) | instskip(SKIP_1) | instid1(VALU_DEP_3)
	v_lshl_or_b32 v21, v21, 9, 0x7c00
	s_wait_alu 0xf1ff
	v_cndmask_b32_e64 v0, 0x7c00, v0, s0
	v_add_co_u32 v9, s0, v15, s6
	s_wait_alu 0xf1ff
	v_add_co_ci_u32_e64 v10, s0, s7, v16, s0
	v_cmp_eq_u32_e64 s0, 0x40f, v17
	v_add_nc_u32_e32 v17, 0xfffffc10, v19
	v_lshrrev_b32_e32 v19, 16, v3
	v_and_or_b32 v3, 0x1ff, v5, v4
	v_and_or_b32 v15, 0x8000, v24, v20
	s_wait_alu 0xf1ff
	v_cndmask_b32_e64 v16, v0, v21, s0
	v_cmp_ne_u32_e64 s0, v25, v22
	v_mul_f64_e32 v[13:14], s[8:9], v[13:14]
	v_lshl_or_b32 v4, v17, 12, v11
	v_lshrrev_b32_e32 v20, 8, v5
	v_bfe_u32 v21, v5, 20, 11
	s_wait_alu 0xf1ff
	v_cndmask_b32_e64 v0, 0, 1, s0
	v_cmp_ne_u32_e64 s0, 0, v3
	v_add_nc_u32_e32 v3, 0xa00, v96
	v_and_or_b32 v16, 0x8000, v19, v16
	v_and_b32_e32 v15, 0xffff, v15
	v_or_b32_e32 v0, v23, v0
	s_wait_alu 0xf1ff
	v_cndmask_b32_e64 v18, 0, 1, s0
	v_cmp_gt_i32_e64 s0, 1, v17
	global_store_b32 v[9:10], v6, off
	v_lshl_or_b32 v6, v16, 16, v15
	v_add_co_u32 v9, s2, v9, s6
	s_wait_alu 0xf1ff
	v_cndmask_b32_e64 v22, v4, v0, s0
	v_cvt_f64_f32_e32 v[0:1], v1
	v_and_or_b32 v18, 0xffe, v20, v18
	v_sub_nc_u32_e32 v20, 0x3f1, v21
	ds_load_2addr_b32 v[3:4], v3 offset0:74 offset1:130
	v_and_b32_e32 v19, 7, v22
	v_lshrrev_b32_e32 v16, 2, v22
	v_or_b32_e32 v23, 0x1000, v18
	v_med3_i32 v20, v20, 0, 13
	v_add_co_ci_u32_e64 v10, s2, s7, v10, s2
	v_cmp_lt_i32_e64 s0, 5, v19
	v_cmp_eq_u32_e64 s1, 3, v19
	s_delay_alu instid0(VALU_DEP_4)
	v_lshrrev_b32_e32 v15, v20, v23
	global_store_b32 v[9:10], v6, off
	v_lshrrev_b32_e32 v5, 16, v5
	s_or_b32 s0, s1, s0
	v_lshlrev_b32_e32 v19, v20, v15
	s_wait_alu 0xfffe
	v_add_co_ci_u32_e64 v22, s0, 0, v16, s0
	v_and_or_b32 v13, 0x1ff, v14, v13
	s_delay_alu instid0(VALU_DEP_3)
	v_cmp_ne_u32_e64 s0, v19, v23
	s_wait_dscnt 0x0
	v_lshrrev_b32_e32 v20, 16, v3
	v_add_nc_u32_e32 v19, 0xfffffc10, v21
	v_lshrrev_b32_e32 v25, 8, v14
	v_bfe_u32 v26, v14, 20, 11
	s_wait_alu 0xf1ff
	v_cndmask_b32_e64 v16, 0, 1, s0
	v_cmp_ne_u32_e64 s0, 0, v11
	v_mul_f16_e32 v21, v27, v20
	v_lshl_or_b32 v24, v19, 12, v18
	v_lshrrev_b32_e32 v14, 16, v14
	v_or_b32_e32 v23, v15, v16
	s_wait_alu 0xf1ff
	v_cndmask_b32_e64 v11, 0, 1, s0
	v_cmp_ne_u32_e64 s0, 0, v13
	v_fmac_f16_e32 v21, v125, v3
	v_mul_f16_e32 v3, v27, v3
	v_lshrrev_b32_e32 v27, 16, v122
	v_mul_f64_e32 v[15:16], s[8:9], v[0:1]
	s_wait_alu 0xf1ff
	v_cndmask_b32_e64 v13, 0, 1, s0
	v_cmp_gt_i32_e64 s0, 1, v19
	v_cvt_f32_f16_e32 v21, v21
	v_lshl_or_b32 v11, v11, 9, 0x7c00
	v_fma_f16 v3, v125, v20, -v3
	v_and_or_b32 v13, 0xffe, v25, v13
	s_wait_alu 0xf1ff
	v_cndmask_b32_e64 v23, v24, v23, s0
	v_cmp_gt_i32_e64 s0, 31, v17
	v_cvt_f64_f32_e32 v[0:1], v21
	v_sub_nc_u32_e32 v21, 0x3f1, v26
	v_or_b32_e32 v25, 0x1000, v13
	v_and_b32_e32 v24, 7, v23
	s_wait_alu 0xf1ff
	v_cndmask_b32_e64 v22, 0x7c00, v22, s0
	v_cmp_eq_u32_e64 s0, 0x40f, v17
	v_med3_i32 v21, v21, 0, 13
	v_add_nc_u32_e32 v20, 0xfffffc10, v26
	v_cmp_eq_u32_e64 s1, 3, v24
	v_cvt_f32_f16_e32 v3, v3
	s_wait_alu 0xf1ff
	v_cndmask_b32_e64 v6, v22, v11, s0
	v_cmp_lt_i32_e64 s0, 5, v24
	v_lshrrev_b32_e32 v22, 16, v12
	v_lshrrev_b32_e32 v12, 2, v23
	;; [unrolled: 1-line block ×3, first 2 shown]
	v_lshl_or_b32 v23, v20, 12, v13
	s_or_b32 s0, s1, s0
	v_and_or_b32 v6, 0x8000, v22, v6
	s_wait_alu 0xfffe
	v_add_co_ci_u32_e64 v12, s0, 0, v12, s0
	v_lshlrev_b32_e32 v17, v21, v11
	v_cmp_ne_u32_e64 s0, 0, v18
	v_and_b32_e32 v6, 0xffff, v6
	s_wait_alu 0xf1ff
	s_delay_alu instid0(VALU_DEP_2) | instskip(SKIP_2) | instid1(VALU_DEP_3)
	v_cndmask_b32_e64 v18, 0, 1, s0
	v_cmp_ne_u32_e64 s0, v17, v25
	v_bfe_u32 v25, v16, 20, 11
	v_lshl_or_b32 v24, v18, 9, 0x7c00
	s_wait_alu 0xf1ff
	s_delay_alu instid0(VALU_DEP_3) | instskip(SKIP_1) | instid1(VALU_DEP_2)
	v_cndmask_b32_e64 v17, 0, 1, s0
	v_cmp_gt_i32_e64 s0, 31, v19
	v_or_b32_e32 v17, v11, v17
	s_wait_alu 0xf1ff
	s_delay_alu instid0(VALU_DEP_2) | instskip(SKIP_4) | instid1(VALU_DEP_1)
	v_cndmask_b32_e64 v21, 0x7c00, v12, s0
	v_cvt_f64_f32_e32 v[11:12], v3
	v_and_or_b32 v3, 0x1ff, v16, v15
	v_cmp_gt_i32_e64 s0, 1, v20
	s_wait_alu 0xf1ff
	v_cndmask_b32_e64 v15, v23, v17, s0
	s_delay_alu instid0(VALU_DEP_3)
	v_cmp_ne_u32_e64 s0, 0, v3
	v_mul_f64_e32 v[17:18], s[8:9], v[0:1]
	ds_load_2addr_b32 v[0:1], v65 offset0:180 offset1:236
	v_lshrrev_b32_e32 v23, 8, v16
	v_lshrrev_b32_e32 v16, 16, v16
	s_wait_alu 0xf1ff
	v_cndmask_b32_e64 v3, 0, 1, s0
	v_cmp_eq_u32_e64 s0, 0x40f, v19
	s_delay_alu instid0(VALU_DEP_2) | instskip(SKIP_1) | instid1(VALU_DEP_2)
	v_and_or_b32 v3, 0xffe, v23, v3
	s_wait_alu 0xf1ff
	v_cndmask_b32_e64 v19, v21, v24, s0
	v_sub_nc_u32_e32 v21, 0x3f1, v25
	v_and_b32_e32 v23, 7, v15
	v_lshrrev_b32_e32 v15, 2, v15
	s_delay_alu instid0(VALU_DEP_4)
	v_and_or_b32 v5, 0x8000, v5, v19
	v_or_b32_e32 v19, 0x1000, v3
	v_med3_i32 v21, v21, 0, 13
	v_cmp_lt_i32_e64 s0, 5, v23
	v_cmp_eq_u32_e64 s1, 3, v23
	v_lshl_or_b32 v24, v5, 16, v6
	s_wait_dscnt 0x0
	v_lshrrev_b32_e32 v23, 16, v0
	v_lshrrev_b32_e32 v22, v21, v19
	s_or_b32 s0, s1, s0
	s_wait_alu 0xfffe
	v_add_co_ci_u32_e64 v15, s0, 0, v15, s0
	s_delay_alu instid0(VALU_DEP_2) | instskip(SKIP_4) | instid1(VALU_DEP_3)
	v_lshlrev_b32_e32 v21, v21, v22
	v_cmp_gt_i32_e64 s0, 31, v20
	v_mul_f16_e32 v5, v27, v23
	v_mul_f64_e32 v[11:12], s[8:9], v[11:12]
	s_wait_alu 0xf1ff
	v_cndmask_b32_e64 v15, 0x7c00, v15, s0
	v_cmp_ne_u32_e64 s0, v21, v19
	v_fmac_f16_e32 v5, v122, v0
	v_add_nc_u32_e32 v21, 0xfffffc10, v25
	v_and_or_b32 v17, 0x1ff, v18, v17
	v_bfe_u32 v25, v18, 20, 11
	s_wait_alu 0xf1ff
	v_cndmask_b32_e64 v6, 0, 1, s0
	v_cmp_ne_u32_e64 s0, 0, v13
	v_cvt_f32_f16_e32 v5, v5
	v_mul_f16_e32 v0, v27, v0
	s_delay_alu instid0(VALU_DEP_4)
	v_or_b32_e32 v19, v22, v6
	s_wait_alu 0xf1ff
	v_cndmask_b32_e64 v13, 0, 1, s0
	v_lshl_or_b32 v22, v21, 12, v3
	v_cmp_gt_i32_e64 s0, 1, v21
	v_cvt_f64_f32_e32 v[5:6], v5
	v_fma_f16 v0, v122, v23, -v0
	v_lshl_or_b32 v13, v13, 9, 0x7c00
	v_add_nc_u32_e32 v23, 0xfffffc10, v25
	s_wait_alu 0xf1ff
	v_cndmask_b32_e64 v19, v22, v19, s0
	v_cmp_ne_u32_e64 s0, 0, v17
	v_lshrrev_b32_e32 v22, 8, v18
	v_cvt_f32_f16_e32 v0, v0
	v_lshrrev_b32_e32 v18, 16, v18
	v_and_b32_e32 v26, 7, v19
	s_wait_alu 0xf1ff
	v_cndmask_b32_e64 v17, 0, 1, s0
	v_cmp_eq_u32_e64 s0, 0x40f, v20
	v_lshrrev_b32_e32 v19, 2, v19
	v_cmp_eq_u32_e64 s1, 3, v26
	s_delay_alu instid0(VALU_DEP_4)
	v_and_or_b32 v17, 0xffe, v22, v17
	s_wait_alu 0xf1ff
	v_cndmask_b32_e64 v13, v15, v13, s0
	v_sub_nc_u32_e32 v15, 0x3f1, v25
	v_cmp_lt_i32_e64 s0, 5, v26
	v_or_b32_e32 v20, 0x1000, v17
	s_delay_alu instid0(VALU_DEP_4) | instskip(NEXT) | instid1(VALU_DEP_4)
	v_and_or_b32 v26, 0x8000, v14, v13
	v_med3_i32 v15, v15, 0, 13
	s_delay_alu instid0(VALU_DEP_4)
	s_or_b32 s0, s1, s0
	v_and_or_b32 v11, 0x1ff, v12, v11
	s_wait_alu 0xfffe
	v_add_co_ci_u32_e64 v19, s0, 0, v19, s0
	v_lshrrev_b32_e32 v22, v15, v20
	v_cmp_gt_i32_e64 s0, 31, v21
	v_lshrrev_b32_e32 v25, 8, v12
	v_and_b32_e32 v26, 0xffff, v26
	s_delay_alu instid0(VALU_DEP_4) | instskip(SKIP_4) | instid1(VALU_DEP_1)
	v_lshlrev_b32_e32 v13, v15, v22
	s_wait_alu 0xf1ff
	v_cndmask_b32_e64 v27, 0x7c00, v19, s0
	v_cmp_ne_u32_e64 s0, 0, v3
	s_wait_alu 0xf1ff
	v_cndmask_b32_e64 v3, 0, 1, s0
	v_cmp_ne_u32_e64 s0, v13, v20
	v_mul_f64_e32 v[13:14], s[8:9], v[5:6]
	v_cvt_f64_f32_e32 v[19:20], v0
	v_bfe_u32 v0, v12, 20, 11
	v_lshl_or_b32 v6, v23, 12, v17
	s_wait_alu 0xf1ff
	v_cndmask_b32_e64 v15, 0, 1, s0
	v_cmp_ne_u32_e64 s0, 0, v11
	v_lshl_or_b32 v3, v3, 9, 0x7c00
	s_delay_alu instid0(VALU_DEP_3) | instskip(SKIP_1) | instid1(VALU_DEP_3)
	v_or_b32_e32 v5, v22, v15
	s_wait_alu 0xf1ff
	v_cndmask_b32_e64 v11, 0, 1, s0
	v_cmp_gt_i32_e64 s0, 1, v23
	v_sub_nc_u32_e32 v15, 0x3f1, v0
	v_add_nc_u32_e32 v0, 0xfffffc10, v0
	s_delay_alu instid0(VALU_DEP_4)
	v_and_or_b32 v11, 0xffe, v25, v11
	s_wait_alu 0xf1ff
	v_cndmask_b32_e64 v22, v6, v5, s0
	ds_load_2addr_b32 v[5:6], v64 offset0:158 offset1:214
	v_med3_i32 v15, v15, 0, 13
	v_cmp_eq_u32_e64 s0, 0x40f, v21
	v_or_b32_e32 v25, 0x1000, v11
	v_and_b32_e32 v21, 7, v22
	v_lshl_or_b32 v28, v0, 12, v11
	s_wait_alu 0xf1ff
	v_cndmask_b32_e64 v3, v27, v3, s0
	v_lshrrev_b32_e32 v27, v15, v25
	v_add_co_u32 v9, s0, v9, s6
	s_wait_alu 0xf1ff
	v_add_co_ci_u32_e64 v10, s0, s7, v10, s0
	s_delay_alu instid0(VALU_DEP_3)
	v_lshlrev_b32_e32 v15, v15, v27
	v_cmp_lt_i32_e64 s0, 5, v21
	v_cmp_eq_u32_e64 s1, 3, v21
	v_and_or_b32 v3, 0x8000, v16, v3
	v_lshrrev_b32_e32 v16, 2, v22
	v_cmp_ne_u32_e64 s2, v15, v25
	s_wait_dscnt 0x0
	v_lshrrev_b32_e32 v21, 16, v5
	s_or_b32 s0, s1, s0
	v_and_or_b32 v13, 0x1ff, v14, v13
	s_wait_alu 0xfffe
	v_add_co_ci_u32_e64 v22, s0, 0, v16, s0
	v_cndmask_b32_e64 v15, 0, 1, s2
	v_mul_f16_e32 v25, v30, v21
	v_cmp_ne_u32_e64 s0, 0, v17
	v_lshl_or_b32 v3, v3, 16, v26
	s_delay_alu instid0(VALU_DEP_4)
	v_or_b32_e32 v27, v27, v15
	v_mul_f64_e32 v[15:16], s[8:9], v[19:20]
	v_fmac_f16_e32 v25, v120, v5
	s_wait_alu 0xf1ff
	v_cndmask_b32_e64 v17, 0, 1, s0
	v_cmp_gt_i32_e64 s0, 1, v0
	v_mul_f16_e32 v5, v30, v5
	v_cvt_f32_f16_e32 v19, v25
	v_lshrrev_b32_e32 v25, 8, v14
	s_wait_alu 0xf1ff
	v_cndmask_b32_e64 v27, v28, v27, s0
	v_cmp_ne_u32_e64 s0, 0, v13
	v_bfe_u32 v28, v14, 20, 11
	v_cvt_f64_f32_e32 v[19:20], v19
	v_lshl_or_b32 v17, v17, 9, 0x7c00
	v_and_b32_e32 v29, 7, v27
	s_wait_alu 0xf1ff
	v_cndmask_b32_e64 v13, 0, 1, s0
	v_cmp_gt_i32_e64 s0, 31, v23
	v_fma_f16 v5, v120, v21, -v5
	v_lshrrev_b32_e32 v14, 16, v14
	v_cmp_eq_u32_e64 s1, 3, v29
	v_and_or_b32 v13, 0xffe, v25, v13
	s_wait_alu 0xf1ff
	v_cndmask_b32_e64 v22, 0x7c00, v22, s0
	v_cmp_eq_u32_e64 s0, 0x40f, v23
	v_sub_nc_u32_e32 v25, 0x3f1, v28
	v_cvt_f32_f16_e32 v5, v5
	s_wait_alu 0xf1ff
	s_delay_alu instid0(VALU_DEP_3)
	v_cndmask_b32_e64 v17, v22, v17, s0
	v_cmp_lt_i32_e64 s0, 5, v29
	v_med3_i32 v23, v25, 0, 13
	v_lshrrev_b32_e32 v25, 2, v27
	v_or_b32_e32 v22, 0x1000, v13
	v_and_or_b32 v26, 0x8000, v18, v17
	s_or_b32 s0, s1, s0
	s_wait_alu 0xfffe
	v_add_co_ci_u32_e64 v17, s0, 0, v25, s0
	v_lshrrev_b32_e32 v27, v23, v22
	v_cmp_ne_u32_e64 s0, 0, v11
	v_and_or_b32 v15, 0x1ff, v16, v15
	v_lshrrev_b32_e32 v25, 8, v16
	s_delay_alu instid0(VALU_DEP_4) | instskip(SKIP_3) | instid1(VALU_DEP_2)
	v_lshlrev_b32_e32 v18, v23, v27
	s_wait_alu 0xf1ff
	v_cndmask_b32_e64 v11, 0, 1, s0
	v_cmp_gt_i32_e64 s0, 31, v0
	v_lshl_or_b32 v11, v11, 9, 0x7c00
	s_wait_alu 0xf1ff
	s_delay_alu instid0(VALU_DEP_2)
	v_cndmask_b32_e64 v23, 0x7c00, v17, s0
	v_cmp_ne_u32_e64 s0, v18, v22
	v_cvt_f64_f32_e32 v[17:18], v5
	v_bfe_u32 v5, v16, 20, 11
	v_mul_f64_e32 v[19:20], s[8:9], v[19:20]
	v_add_nc_u32_e32 v22, 0xfffffc10, v28
	s_wait_alu 0xf1ff
	v_cndmask_b32_e64 v21, 0, 1, s0
	v_cmp_ne_u32_e64 s0, 0, v15
	s_wait_alu 0xf1ff
	s_delay_alu instid0(VALU_DEP_1) | instskip(SKIP_1) | instid1(VALU_DEP_2)
	v_cndmask_b32_e64 v15, 0, 1, s0
	v_cmp_eq_u32_e64 s0, 0x40f, v0
	v_and_or_b32 v15, 0xffe, v25, v15
	s_wait_alu 0xf1ff
	s_delay_alu instid0(VALU_DEP_2)
	v_cndmask_b32_e64 v0, v23, v11, s0
	v_sub_nc_u32_e32 v23, 0x3f1, v5
	v_or_b32_e32 v11, v27, v21
	v_lshl_or_b32 v21, v22, 12, v13
	v_cmp_gt_i32_e64 s0, 1, v22
	v_lshrrev_b32_e32 v25, 16, v12
	v_or_b32_e32 v27, 0x1000, v15
	v_med3_i32 v23, v23, 0, 13
	v_add_nc_u32_e32 v5, 0xfffffc10, v5
	s_wait_alu 0xf1ff
	v_cndmask_b32_e64 v21, v21, v11, s0
	v_add_co_u32 v11, s0, v9, s10
	v_and_or_b32 v0, 0x8000, v25, v0
	v_and_b32_e32 v25, 0xffff, v26
	v_lshrrev_b32_e32 v26, v23, v27
	s_wait_alu 0xf1ff
	v_add_co_ci_u32_e64 v12, s0, s11, v10, s0
	v_and_b32_e32 v28, 7, v21
	global_store_b32 v[9:10], v24, off
	global_store_b32 v[11:12], v3, off
	v_lshlrev_b32_e32 v3, v23, v26
	v_lshrrev_b32_e32 v23, 16, v2
	v_cmp_lt_i32_e64 s0, 5, v28
	v_cmp_eq_u32_e64 s1, 3, v28
	v_lshrrev_b32_e32 v9, 2, v21
	v_cmp_ne_u32_e64 s2, v3, v27
	v_lshrrev_b32_e32 v27, 16, v117
	v_and_or_b32 v19, 0x1ff, v20, v19
	s_or_b32 s0, s1, s0
	v_lshl_or_b32 v0, v0, 16, v25
	s_wait_alu 0xfffe
	v_add_co_ci_u32_e64 v24, s0, 0, v9, s0
	v_mul_f16_e32 v21, v27, v23
	v_cndmask_b32_e64 v3, 0, 1, s2
	v_cmp_ne_u32_e64 s0, 0, v13
	v_mul_f64_e32 v[9:10], s[8:9], v[17:18]
	v_lshl_or_b32 v17, v5, 12, v15
	v_fmac_f16_e32 v21, v117, v2
	v_or_b32_e32 v3, v26, v3
	s_wait_alu 0xf1ff
	v_cndmask_b32_e64 v13, 0, 1, s0
	v_cmp_gt_i32_e64 s0, 1, v5
	v_bfe_u32 v25, v20, 20, 11
	v_cvt_f32_f16_e32 v18, v21
	v_lshrrev_b32_e32 v21, 8, v20
	v_lshl_or_b32 v13, v13, 9, 0x7c00
	s_wait_alu 0xf1ff
	v_cndmask_b32_e64 v3, v17, v3, s0
	v_cmp_ne_u32_e64 s0, 0, v19
	v_cvt_f64_f32_e32 v[17:18], v18
	v_cmp_eq_u32_e64 s2, 0x40f, v22
	v_mul_f16_e32 v2, v27, v2
	v_and_b32_e32 v26, 7, v3
	s_wait_alu 0xf1ff
	v_cndmask_b32_e64 v19, 0, 1, s0
	v_cmp_gt_i32_e64 s0, 31, v22
	v_lshrrev_b32_e32 v3, 2, v3
	v_fma_f16 v2, v117, v23, -v2
	v_cmp_eq_u32_e64 s1, 3, v26
	v_and_or_b32 v19, 0xffe, v21, v19
	v_sub_nc_u32_e32 v21, 0x3f1, v25
	s_wait_alu 0xf1ff
	v_cndmask_b32_e64 v24, 0x7c00, v24, s0
	v_cmp_lt_i32_e64 s0, 5, v26
	v_add_nc_u32_e32 v23, 0xfffffc10, v25
	v_or_b32_e32 v26, 0x1000, v19
	v_med3_i32 v21, v21, 0, 13
	v_cndmask_b32_e64 v13, v24, v13, s2
	s_or_b32 s0, s1, s0
	v_lshrrev_b32_e32 v28, 16, v116
	s_wait_alu 0xfffe
	v_add_co_ci_u32_e64 v3, s0, 0, v3, s0
	v_lshrrev_b32_e32 v22, v21, v26
	v_and_or_b32 v24, 0x8000, v14, v13
	v_cmp_gt_i32_e64 s0, 31, v5
	s_delay_alu instid0(VALU_DEP_3) | instskip(SKIP_2) | instid1(VALU_DEP_3)
	v_lshlrev_b32_e32 v13, v21, v22
	v_bfe_u32 v27, v10, 20, 11
	s_wait_alu 0xf1ff
	v_cndmask_b32_e64 v21, 0x7c00, v3, s0
	v_and_or_b32 v3, 0x1ff, v10, v9
	v_cmp_ne_u32_e64 s0, v13, v26
	v_cvt_f32_f16_e32 v13, v2
	v_lshrrev_b32_e32 v26, 8, v10
	s_wait_alu 0xf1ff
	s_delay_alu instid0(VALU_DEP_3)
	v_cndmask_b32_e64 v9, 0, 1, s0
	v_cmp_ne_u32_e64 s0, 0, v3
	v_mul_f64_e32 v[2:3], s[8:9], v[17:18]
	v_cvt_f64_f32_e32 v[13:14], v13
	v_lshl_or_b32 v17, v23, 12, v19
	v_or_b32_e32 v9, v22, v9
	s_wait_alu 0xf1ff
	v_cndmask_b32_e64 v25, 0, 1, s0
	v_cmp_ne_u32_e64 s0, 0, v15
	v_sub_nc_u32_e32 v22, 0x3f1, v27
	s_delay_alu instid0(VALU_DEP_3) | instskip(SKIP_1) | instid1(VALU_DEP_3)
	v_and_or_b32 v18, 0xffe, v26, v25
	s_wait_alu 0xf1ff
	v_cndmask_b32_e64 v15, 0, 1, s0
	v_cmp_gt_i32_e64 s0, 1, v23
	v_med3_i32 v22, v22, 0, 13
	s_delay_alu instid0(VALU_DEP_3) | instskip(SKIP_1) | instid1(VALU_DEP_3)
	v_lshl_or_b32 v15, v15, 9, 0x7c00
	s_wait_alu 0xf1ff
	v_cndmask_b32_e64 v9, v17, v9, s0
	v_or_b32_e32 v17, 0x1000, v18
	v_cmp_eq_u32_e64 s0, 0x40f, v5
	s_wait_alu 0xf1ff
	s_delay_alu instid0(VALU_DEP_1) | instskip(SKIP_4) | instid1(VALU_DEP_4)
	v_cndmask_b32_e64 v5, v21, v15, s0
	v_lshrrev_b32_e32 v15, 16, v16
	v_lshrrev_b32_e32 v21, v22, v17
	v_and_b32_e32 v16, 7, v9
	v_add_co_u32 v11, s0, v11, s6
	v_and_or_b32 v5, 0x8000, v15, v5
	s_delay_alu instid0(VALU_DEP_4)
	v_lshlrev_b32_e32 v15, v22, v21
	s_wait_alu 0xf1ff
	v_add_co_ci_u32_e64 v12, s0, s7, v12, s0
	v_cmp_lt_i32_e64 s0, 5, v16
	v_cmp_eq_u32_e64 s1, 3, v16
	v_lshrrev_b32_e32 v9, 2, v9
	v_cmp_ne_u32_e64 s2, v15, v17
	v_lshrrev_b32_e32 v17, 16, v4
	v_and_b32_e32 v22, 0xffff, v24
	s_or_b32 s0, s1, s0
	v_add_nc_u32_e32 v24, 0xfffffc10, v27
	s_wait_alu 0xfffe
	v_add_co_ci_u32_e64 v9, s0, 0, v9, s0
	v_cndmask_b32_e64 v15, 0, 1, s2
	v_mul_f16_e32 v16, v28, v17
	v_cmp_ne_u32_e64 s0, 0, v19
	v_and_or_b32 v2, 0x1ff, v3, v2
	v_mul_f64_e32 v[13:14], s[8:9], v[13:14]
	v_or_b32_e32 v15, v21, v15
	v_lshl_or_b32 v21, v24, 12, v18
	v_fmac_f16_e32 v16, v116, v4
	s_wait_alu 0xf1ff
	v_cndmask_b32_e64 v19, 0, 1, s0
	v_cmp_gt_i32_e64 s0, 1, v24
	v_lshrrev_b32_e32 v25, 8, v3
	v_bfe_u32 v26, v3, 20, 11
	v_lshl_or_b32 v22, v5, 16, v22
	v_lshl_or_b32 v19, v19, 9, 0x7c00
	s_wait_alu 0xf1ff
	v_cndmask_b32_e64 v21, v21, v15, s0
	v_cvt_f32_f16_e32 v15, v16
	v_cmp_ne_u32_e64 s0, 0, v2
	v_mul_f16_e32 v4, v28, v4
	v_lshrrev_b32_e32 v3, 16, v3
	v_and_b32_e32 v27, 7, v21
	v_cvt_f64_f32_e32 v[15:16], v15
	s_wait_alu 0xf1ff
	v_cndmask_b32_e64 v2, 0, 1, s0
	v_cmp_gt_i32_e64 s0, 31, v23
	v_lshrrev_b32_e32 v5, 2, v21
	v_cmp_eq_u32_e64 s1, 3, v27
	v_fma_f16 v4, v116, v17, -v4
	v_and_or_b32 v2, 0xffe, v25, v2
	s_wait_alu 0xf1ff
	v_cndmask_b32_e64 v9, 0x7c00, v9, s0
	v_cmp_eq_u32_e64 s0, 0x40f, v23
	v_sub_nc_u32_e32 v25, 0x3f1, v26
	v_add_nc_u32_e32 v17, 0xfffffc10, v26
	v_lshrrev_b32_e32 v28, 16, v106
	s_wait_alu 0xf1ff
	v_cndmask_b32_e64 v9, v9, v19, s0
	v_cmp_lt_i32_e64 s0, 5, v27
	v_lshrrev_b32_e32 v19, 16, v20
	v_or_b32_e32 v20, 0x1000, v2
	v_med3_i32 v23, v25, 0, 13
	v_lshrrev_b32_e32 v27, 16, v108
	s_or_b32 s0, s1, s0
	v_and_or_b32 v19, 0x8000, v19, v9
	s_wait_alu 0xfffe
	v_add_co_ci_u32_e64 v5, s0, 0, v5, s0
	v_lshrrev_b32_e32 v9, v23, v20
	v_cmp_ne_u32_e64 s0, 0, v18
	v_lshrrev_b32_e32 v25, 8, v14
	v_bfe_u32 v26, v14, 20, 11
	v_and_b32_e32 v19, 0xffff, v19
	v_lshlrev_b32_e32 v21, v23, v9
	s_wait_alu 0xf1ff
	v_cndmask_b32_e64 v18, 0, 1, s0
	v_cmp_gt_i32_e64 s0, 31, v24
	s_delay_alu instid0(VALU_DEP_2) | instskip(SKIP_1) | instid1(VALU_DEP_2)
	v_lshl_or_b32 v18, v18, 9, 0x7c00
	s_wait_alu 0xf1ff
	v_cndmask_b32_e64 v23, 0x7c00, v5, s0
	v_and_or_b32 v5, 0x1ff, v14, v13
	v_cmp_ne_u32_e64 s0, v21, v20
	v_cvt_f32_f16_e32 v20, v4
	v_lshrrev_b32_e32 v14, 16, v14
	s_wait_alu 0xf1ff
	s_delay_alu instid0(VALU_DEP_3) | instskip(SKIP_3) | instid1(VALU_DEP_4)
	v_cndmask_b32_e64 v13, 0, 1, s0
	v_cmp_ne_u32_e64 s0, 0, v5
	v_mul_f64_e32 v[4:5], s[8:9], v[15:16]
	v_cvt_f64_f32_e32 v[15:16], v20
	v_or_b32_e32 v9, v9, v13
	s_wait_alu 0xf1ff
	v_cndmask_b32_e64 v21, 0, 1, s0
	v_cmp_eq_u32_e64 s0, 0x40f, v24
	v_lshl_or_b32 v13, v17, 12, v2
	s_delay_alu instid0(VALU_DEP_3)
	v_and_or_b32 v20, 0xffe, v25, v21
	v_sub_nc_u32_e32 v21, 0x3f1, v26
	s_wait_alu 0xf1ff
	v_cndmask_b32_e64 v18, v23, v18, s0
	v_cmp_gt_i32_e64 s0, 1, v17
	v_lshrrev_b32_e32 v23, 16, v10
	v_or_b32_e32 v24, 0x1000, v20
	v_med3_i32 v21, v21, 0, 13
	s_wait_alu 0xf1ff
	v_cndmask_b32_e64 v13, v13, v9, s0
	v_add_co_u32 v9, s0, v11, s6
	v_and_or_b32 v18, 0x8000, v23, v18
	v_lshrrev_b32_e32 v23, v21, v24
	s_wait_alu 0xf1ff
	v_add_co_ci_u32_e64 v10, s0, s7, v12, s0
	v_and_b32_e32 v25, 7, v13
	global_store_b32 v[11:12], v0, off
	global_store_b32 v[9:10], v22, off
	v_lshlrev_b32_e32 v0, v21, v23
	v_lshrrev_b32_e32 v11, 2, v13
	v_cmp_lt_i32_e64 s0, 5, v25
	v_cmp_eq_u32_e64 s1, 3, v25
	v_lshl_or_b32 v18, v18, 16, v19
	v_cmp_ne_u32_e64 s2, v0, v24
	v_lshrrev_b32_e32 v19, 16, v1
	v_lshrrev_b32_e32 v25, 16, v114
	s_or_b32 s0, s1, s0
	v_add_nc_u32_e32 v13, 0xfffffc10, v26
	s_wait_alu 0xfffe
	v_add_co_ci_u32_e64 v22, s0, 0, v11, s0
	v_cndmask_b32_e64 v0, 0, 1, s2
	v_cmp_ne_u32_e64 s0, 0, v2
	v_mul_f16_e32 v21, v25, v19
	v_and_or_b32 v4, 0x1ff, v5, v4
	v_mul_f64_e32 v[11:12], s[8:9], v[15:16]
	v_or_b32_e32 v0, v23, v0
	v_lshl_or_b32 v23, v13, 12, v20
	s_wait_alu 0xf1ff
	v_cndmask_b32_e64 v2, 0, 1, s0
	v_cmp_gt_i32_e64 s0, 1, v13
	v_fmac_f16_e32 v21, v114, v1
	v_cmp_eq_u32_e64 s2, 0x40f, v17
	s_delay_alu instid0(VALU_DEP_4)
	v_lshl_or_b32 v2, v2, 9, 0x7c00
	s_wait_alu 0xf1ff
	v_cndmask_b32_e64 v0, v23, v0, s0
	v_cmp_ne_u32_e64 s0, 0, v4
	v_cvt_f32_f16_e32 v15, v21
	v_lshrrev_b32_e32 v21, 8, v5
	v_bfe_u32 v23, v5, 20, 11
	v_and_b32_e32 v24, 7, v0
	s_wait_alu 0xf1ff
	v_cndmask_b32_e64 v4, 0, 1, s0
	v_cvt_f64_f32_e32 v[15:16], v15
	v_cmp_gt_i32_e64 s0, 31, v17
	v_lshrrev_b32_e32 v0, 2, v0
	v_cmp_eq_u32_e64 s1, 3, v24
	v_and_or_b32 v4, 0xffe, v21, v4
	v_sub_nc_u32_e32 v21, 0x3f1, v23
	s_wait_alu 0xf1ff
	v_cndmask_b32_e64 v22, 0x7c00, v22, s0
	v_cmp_lt_i32_e64 s0, 5, v24
	v_or_b32_e32 v24, 0x1000, v4
	v_med3_i32 v21, v21, 0, 13
	s_delay_alu instid0(VALU_DEP_4) | instskip(NEXT) | instid1(VALU_DEP_4)
	v_cndmask_b32_e64 v2, v22, v2, s2
	s_or_b32 s0, s1, s0
	s_wait_alu 0xfffe
	v_add_co_ci_u32_e64 v0, s0, 0, v0, s0
	v_lshrrev_b32_e32 v17, v21, v24
	v_cmp_ne_u32_e64 s0, 0, v20
	v_and_or_b32 v22, 0x8000, v3, v2
	s_delay_alu instid0(VALU_DEP_3) | instskip(SKIP_1) | instid1(VALU_DEP_3)
	v_lshlrev_b32_e32 v21, v21, v17
	s_wait_alu 0xf1ff
	v_cndmask_b32_e64 v20, 0, 1, s0
	v_cmp_gt_i32_e64 s0, 31, v13
	v_and_or_b32 v11, 0x1ff, v12, v11
	s_delay_alu instid0(VALU_DEP_3) | instskip(SKIP_1) | instid1(VALU_DEP_3)
	v_lshl_or_b32 v2, v20, 9, 0x7c00
	s_wait_alu 0xf1ff
	v_cndmask_b32_e64 v0, 0x7c00, v0, s0
	v_cmp_ne_u32_e64 s0, v21, v24
	v_add_nc_u32_e32 v20, 0xfffffc10, v23
	s_wait_alu 0xf1ff
	s_delay_alu instid0(VALU_DEP_2) | instskip(SKIP_2) | instid1(VALU_DEP_1)
	v_cndmask_b32_e64 v3, 0, 1, s0
	v_cmp_eq_u32_e64 s0, 0x40f, v13
	s_wait_alu 0xf1ff
	v_cndmask_b32_e64 v13, v0, v2, s0
	v_cmp_ne_u32_e64 s0, 0, v11
	v_or_b32_e32 v2, v17, v3
	v_mul_f16_e32 v3, v25, v1
	v_mul_f64_e32 v[0:1], s[8:9], v[15:16]
	v_lshrrev_b32_e32 v15, 8, v12
	s_wait_alu 0xf1ff
	v_cndmask_b32_e64 v11, 0, 1, s0
	v_bfe_u32 v16, v12, 20, 11
	v_lshl_or_b32 v17, v20, 12, v4
	v_fma_f16 v3, v114, v19, -v3
	v_cmp_gt_i32_e64 s0, 1, v20
	v_and_or_b32 v11, 0xffe, v15, v11
	v_sub_nc_u32_e32 v15, 0x3f1, v16
	v_and_or_b32 v13, 0x8000, v14, v13
	v_and_b32_e32 v14, 0xffff, v22
	s_wait_alu 0xf1ff
	v_cndmask_b32_e64 v17, v17, v2, s0
	v_cvt_f32_f16_e32 v2, v3
	v_or_b32_e32 v21, 0x1000, v11
	v_med3_i32 v15, v15, 0, 13
	v_add_co_u32 v9, s0, v9, s6
	v_and_b32_e32 v19, 7, v17
	v_cvt_f64_f32_e32 v[2:3], v2
	s_delay_alu instid0(VALU_DEP_4)
	v_lshrrev_b32_e32 v22, v15, v21
	s_wait_alu 0xf1ff
	v_add_co_ci_u32_e64 v10, s0, s7, v10, s0
	v_cmp_lt_i32_e64 s0, 5, v19
	v_cmp_eq_u32_e64 s1, 3, v19
	v_lshrrev_b32_e32 v17, 2, v17
	v_lshlrev_b32_e32 v15, v15, v22
	global_store_b32 v[9:10], v18, off
	v_lshl_or_b32 v18, v13, 16, v14
	s_or_b32 s0, s1, s0
	v_lshrrev_b32_e32 v25, 16, v112
	s_wait_alu 0xfffe
	v_add_co_ci_u32_e64 v13, s0, 0, v17, s0
	v_cmp_ne_u32_e64 s0, v15, v21
	v_add_nc_u32_e32 v15, 0xfffffc10, v16
	v_lshrrev_b32_e32 v16, 16, v6
	v_lshrrev_b32_e32 v12, 16, v12
	s_wait_alu 0xf1ff
	v_cndmask_b32_e64 v14, 0, 1, s0
	v_cmp_gt_i32_e64 s0, 31, v20
	v_and_or_b32 v0, 0x1ff, v1, v0
	v_mul_f16_e32 v19, v25, v16
	v_bfe_u32 v23, v1, 20, 11
	s_wait_alu 0xf1ff
	v_cndmask_b32_e64 v17, 0x7c00, v13, s0
	v_cmp_ne_u32_e64 s0, 0, v4
	v_or_b32_e32 v13, v22, v14
	v_lshl_or_b32 v14, v15, 12, v11
	v_fmac_f16_e32 v19, v112, v6
	v_sub_nc_u32_e32 v24, 0x3f1, v23
	s_wait_alu 0xf1ff
	v_cndmask_b32_e64 v21, 0, 1, s0
	v_cmp_gt_i32_e64 s0, 1, v15
	v_mul_f16_e32 v6, v25, v6
	s_wait_alu 0xf1ff
	s_delay_alu instid0(VALU_DEP_2)
	v_cndmask_b32_e64 v22, v14, v13, s0
	v_cmp_ne_u32_e64 s0, 0, v0
	v_lshrrev_b32_e32 v13, 8, v1
	v_mul_f64_e32 v[3:4], s[8:9], v[2:3]
	v_cvt_f32_f16_e32 v2, v19
	v_lshl_or_b32 v19, v21, 9, 0x7c00
	s_wait_alu 0xf1ff
	v_cndmask_b32_e64 v0, 0, 1, s0
	v_and_b32_e32 v21, 7, v22
	v_cmp_eq_u32_e64 s0, 0x40f, v20
	v_lshrrev_b32_e32 v20, 16, v5
	v_lshrrev_b32_e32 v5, 2, v22
	v_and_or_b32 v0, 0xffe, v13, v0
	v_cvt_f64_f32_e32 v[13:14], v2
	s_wait_alu 0xf1ff
	v_cndmask_b32_e64 v2, v17, v19, s0
	v_cmp_lt_i32_e64 s0, 5, v21
	v_cmp_eq_u32_e64 s1, 3, v21
	v_or_b32_e32 v17, 0x1000, v0
	v_med3_i32 v19, v24, 0, 13
	v_fma_f16 v6, v112, v16, -v6
	v_and_or_b32 v2, 0x8000, v20, v2
	s_or_b32 s0, s1, s0
	v_lshrrev_b32_e32 v24, 16, v110
	s_wait_alu 0xfffe
	v_add_co_ci_u32_e64 v5, s0, 0, v5, s0
	v_lshrrev_b32_e32 v21, v19, v17
	v_cmp_ne_u32_e64 s0, 0, v11
	v_cvt_f32_f16_e32 v6, v6
	v_and_b32_e32 v2, 0xffff, v2
	v_lshrrev_b32_e32 v1, 16, v1
	v_lshlrev_b32_e32 v16, v19, v21
	s_wait_alu 0xf1ff
	v_cndmask_b32_e64 v11, 0, 1, s0
	v_cmp_gt_i32_e64 s0, 31, v15
	s_delay_alu instid0(VALU_DEP_2) | instskip(SKIP_1) | instid1(VALU_DEP_2)
	v_lshl_or_b32 v11, v11, 9, 0x7c00
	s_wait_alu 0xf1ff
	v_cndmask_b32_e64 v19, 0x7c00, v5, s0
	v_cvt_f64_f32_e32 v[5:6], v6
	v_cmp_ne_u32_e64 s0, v16, v17
	v_add_nc_u32_e32 v17, 0xfffffc10, v23
	v_and_or_b32 v3, 0x1ff, v4, v3
	s_wait_alu 0xf1ff
	s_delay_alu instid0(VALU_DEP_3) | instskip(SKIP_1) | instid1(VALU_DEP_2)
	v_cndmask_b32_e64 v16, 0, 1, s0
	v_cmp_eq_u32_e64 s0, 0x40f, v15
	v_or_b32_e32 v15, v21, v16
	s_wait_alu 0xf1ff
	s_delay_alu instid0(VALU_DEP_2) | instskip(SKIP_2) | instid1(VALU_DEP_3)
	v_cndmask_b32_e64 v11, v19, v11, s0
	v_lshl_or_b32 v16, v17, 12, v0
	v_cmp_gt_i32_e64 s0, 1, v17
	v_and_or_b32 v19, 0x8000, v12, v11
	v_mul_f64_e32 v[11:12], s[8:9], v[13:14]
	s_wait_alu 0xf1ff
	s_delay_alu instid0(VALU_DEP_3)
	v_cndmask_b32_e64 v15, v16, v15, s0
	v_cmp_ne_u32_e64 s0, 0, v3
	v_lshrrev_b32_e32 v13, 8, v4
	v_bfe_u32 v16, v4, 20, 11
	v_lshl_or_b32 v19, v19, 16, v2
	v_and_b32_e32 v14, 7, v15
	s_wait_alu 0xf1ff
	v_cndmask_b32_e64 v3, 0, 1, s0
	v_add_co_u32 v9, s0, v9, s10
	s_wait_alu 0xf1ff
	v_add_co_ci_u32_e64 v10, s0, s11, v10, s0
	s_delay_alu instid0(VALU_DEP_3)
	v_and_or_b32 v20, 0xffe, v13, v3
	ds_load_2addr_b32 v[2:3], v63 offset0:80 offset1:136
	v_sub_nc_u32_e32 v13, 0x3f1, v16
	v_cmp_lt_i32_e64 s0, 5, v14
	v_cmp_eq_u32_e64 s1, 3, v14
	v_lshrrev_b32_e32 v15, 2, v15
	v_or_b32_e32 v21, 0x1000, v20
	v_med3_i32 v22, v13, 0, 13
	v_mul_f64_e32 v[5:6], s[8:9], v[5:6]
	s_or_b32 s0, s1, s0
	v_add_co_u32 v13, s2, v9, s6
	s_wait_alu 0xfffe
	v_add_co_ci_u32_e64 v15, s0, 0, v15, s0
	v_lshrrev_b32_e32 v23, v22, v21
	v_cmp_gt_i32_e64 s0, 31, v17
	s_wait_alu 0xf1ff
	v_add_co_ci_u32_e64 v14, s2, s7, v10, s2
	global_store_b32 v[9:10], v18, off
	global_store_b32 v[13:14], v19, off
	v_lshlrev_b32_e32 v9, v22, v23
	v_cndmask_b32_e64 v15, 0x7c00, v15, s0
	s_wait_dscnt 0x0
	v_lshrrev_b32_e32 v18, 16, v2
	v_cmp_ne_u32_e64 s0, 0, v0
	v_add_nc_u32_e32 v19, 0xfffffc10, v16
	v_and_or_b32 v11, 0x1ff, v12, v11
	v_bfe_u32 v22, v12, 20, 11
	v_mul_f16_e32 v10, v24, v18
	s_wait_alu 0xf1ff
	v_cndmask_b32_e64 v0, 0, 1, s0
	v_cmp_ne_u32_e64 s0, v9, v21
	v_lshl_or_b32 v16, v19, 12, v20
	v_lshrrev_b32_e32 v21, 8, v12
	v_fmac_f16_e32 v10, v110, v2
	v_lshl_or_b32 v0, v0, 9, 0x7c00
	s_wait_alu 0xf1ff
	v_cndmask_b32_e64 v9, 0, 1, s0
	v_cmp_ne_u32_e64 s0, 0, v11
	v_mul_f16_e32 v2, v24, v2
	v_cvt_f32_f16_e32 v10, v10
	v_lshrrev_b32_e32 v4, 16, v4
	v_or_b32_e32 v9, v23, v9
	s_wait_alu 0xf1ff
	v_cndmask_b32_e64 v11, 0, 1, s0
	v_cmp_gt_i32_e64 s0, 1, v19
	v_fma_f16 v2, v110, v18, -v2
	v_add_nc_u32_e32 v18, 0xfffffc10, v22
	v_lshrrev_b32_e32 v12, 16, v12
	v_and_or_b32 v11, 0xffe, v21, v11
	s_wait_alu 0xf1ff
	v_cndmask_b32_e64 v16, v16, v9, s0
	v_cvt_f64_f32_e32 v[9:10], v10
	v_sub_nc_u32_e32 v21, 0x3f1, v22
	v_cmp_eq_u32_e64 s0, 0x40f, v17
	v_or_b32_e32 v17, 0x1000, v11
	v_and_or_b32 v5, 0x1ff, v6, v5
	v_bfe_u32 v23, v6, 20, 11
	v_med3_i32 v21, v21, 0, 13
	s_wait_alu 0xf1ff
	v_cndmask_b32_e64 v0, v15, v0, s0
	v_and_b32_e32 v15, 7, v16
	v_cmp_ne_u32_e64 s2, 0, v5
	v_lshrrev_b32_e32 v16, 2, v16
	v_cvt_f32_f16_e32 v2, v2
	v_and_or_b32 v0, 0x8000, v1, v0
	v_lshrrev_b32_e32 v1, v21, v17
	v_cmp_lt_i32_e64 s0, 5, v15
	v_cmp_eq_u32_e64 s1, 3, v15
	s_wait_alu 0xf1ff
	v_cndmask_b32_e64 v5, 0, 1, s2
	v_lshrrev_b32_e32 v15, 8, v6
	v_lshlrev_b32_e32 v21, v21, v1
	v_and_b32_e32 v0, 0xffff, v0
	s_or_b32 s0, s1, s0
	v_lshrrev_b32_e32 v6, 16, v6
	v_and_or_b32 v5, 0xffe, v15, v5
	v_sub_nc_u32_e32 v15, 0x3f1, v23
	v_cmp_ne_u32_e64 s2, v21, v17
	s_wait_alu 0xfffe
	v_add_co_ci_u32_e64 v24, s0, 0, v16, s0
	v_or_b32_e32 v21, 0x1000, v5
	v_med3_i32 v22, v15, 0, 13
	s_wait_alu 0xf1ff
	v_cndmask_b32_e64 v17, 0, 1, s2
	v_cmp_ne_u32_e64 s0, 0, v20
	v_cvt_f64_f32_e32 v[15:16], v2
	v_add_nc_u32_e32 v23, 0xfffffc10, v23
	v_lshrrev_b32_e32 v25, v22, v21
	v_or_b32_e32 v1, v1, v17
	v_lshl_or_b32 v17, v18, 12, v11
	s_wait_alu 0xf1ff
	v_cndmask_b32_e64 v2, 0, 1, s0
	v_cmp_gt_i32_e64 s0, 1, v18
	v_mul_f64_e32 v[9:10], s[8:9], v[9:10]
	v_cmp_gt_i32_e64 s2, 1, v23
	s_delay_alu instid0(VALU_DEP_4) | instskip(SKIP_4) | instid1(VALU_DEP_3)
	v_lshl_or_b32 v2, v2, 9, 0x7c00
	s_wait_alu 0xf1ff
	v_cndmask_b32_e64 v17, v17, v1, s0
	v_lshlrev_b32_e32 v1, v22, v25
	v_cmp_gt_i32_e64 s0, 31, v19
	v_and_b32_e32 v22, 7, v17
	v_lshrrev_b32_e32 v17, 2, v17
	s_wait_alu 0xf1ff
	s_delay_alu instid0(VALU_DEP_3) | instskip(SKIP_3) | instid1(VALU_DEP_2)
	v_cndmask_b32_e64 v20, 0x7c00, v24, s0
	v_cmp_ne_u32_e64 s0, v1, v21
	v_cmp_eq_u32_e64 s1, 3, v22
	s_wait_alu 0xf1ff
	v_cndmask_b32_e64 v21, 0, 1, s0
	v_cmp_eq_u32_e64 s0, 0x40f, v19
	s_wait_alu 0xf1ff
	s_delay_alu instid0(VALU_DEP_1)
	v_cndmask_b32_e64 v19, v20, v2, s0
	ds_load_2addr_b32 v[1:2], v54 offset0:58 offset1:114
	v_cmp_lt_i32_e64 s0, 5, v22
	v_or_b32_e32 v20, v25, v21
	v_lshl_or_b32 v21, v23, 12, v5
	v_and_or_b32 v19, 0x8000, v4, v19
	s_delay_alu instid0(VALU_DEP_4)
	s_or_b32 s0, s1, s0
	v_mul_f64_e32 v[15:16], s[8:9], v[15:16]
	s_wait_alu 0xfffe
	v_add_co_ci_u32_e64 v17, s0, 0, v17, s0
	v_cndmask_b32_e64 v20, v21, v20, s2
	v_cmp_gt_i32_e64 s0, 31, v18
	v_and_or_b32 v9, 0x1ff, v10, v9
	s_delay_alu instid0(VALU_DEP_3) | instskip(SKIP_1) | instid1(VALU_DEP_3)
	v_and_b32_e32 v4, 7, v20
	s_wait_alu 0xf1ff
	v_cndmask_b32_e64 v17, 0x7c00, v17, s0
	v_cmp_ne_u32_e64 s0, 0, v11
	v_bfe_u32 v24, v10, 20, 11
	s_wait_dscnt 0x0
	v_lshrrev_b32_e32 v21, 16, v1
	v_cmp_eq_u32_e64 s1, 3, v4
	s_wait_alu 0xf1ff
	v_cndmask_b32_e64 v11, 0, 1, s0
	v_cmp_lt_i32_e64 s0, 5, v4
	v_lshrrev_b32_e32 v4, 2, v20
	v_mul_f16_e32 v20, v27, v21
	v_sub_nc_u32_e32 v26, 0x3f1, v24
	v_lshl_or_b32 v11, v11, 9, 0x7c00
	s_or_b32 s0, s1, s0
	s_wait_alu 0xfffe
	v_add_co_ci_u32_e64 v22, s0, 0, v4, s0
	v_cmp_ne_u32_e64 s0, 0, v9
	v_fmac_f16_e32 v20, v108, v1
	v_lshrrev_b32_e32 v9, 8, v10
	v_med3_i32 v26, v26, 0, 13
	v_mul_f16_e32 v1, v27, v1
	s_wait_alu 0xf1ff
	v_cndmask_b32_e64 v4, 0, 1, s0
	v_cmp_ne_u32_e64 s0, 0, v5
	v_cvt_f32_f16_e32 v20, v20
	v_lshrrev_b32_e32 v10, 16, v10
	v_fma_f16 v1, v108, v21, -v1
	v_and_or_b32 v9, 0xffe, v9, v4
	s_wait_alu 0xf1ff
	v_cndmask_b32_e64 v25, 0, 1, s0
	v_cmp_gt_i32_e64 s0, 31, v23
	v_cvt_f64_f32_e32 v[4:5], v20
	v_cvt_f32_f16_e32 v1, v1
	v_bfe_u32 v21, v16, 20, 11
	v_lshl_or_b32 v25, v25, 9, 0x7c00
	s_wait_alu 0xf1ff
	v_cndmask_b32_e64 v20, 0x7c00, v22, s0
	v_or_b32_e32 v22, 0x1000, v9
	v_cmp_eq_u32_e64 s0, 0x40f, v18
	s_wait_alu 0xf1ff
	s_delay_alu instid0(VALU_DEP_1) | instskip(NEXT) | instid1(VALU_DEP_3)
	v_cndmask_b32_e64 v11, v17, v11, s0
	v_lshrrev_b32_e32 v17, v26, v22
	v_cmp_eq_u32_e64 s0, 0x40f, v23
	v_lshl_or_b32 v23, v19, 16, v0
	s_delay_alu instid0(VALU_DEP_4) | instskip(NEXT) | instid1(VALU_DEP_4)
	v_and_or_b32 v19, 0x8000, v12, v11
	v_lshlrev_b32_e32 v0, v26, v17
	s_wait_alu 0xf1ff
	v_cndmask_b32_e64 v18, v20, v25, s0
	v_lshrrev_b32_e32 v20, 8, v16
	v_cvt_f64_f32_e32 v[11:12], v1
	v_and_b32_e32 v19, 0xffff, v19
	v_cmp_ne_u32_e64 s0, v0, v22
	v_and_or_b32 v18, 0x8000, v6, v18
	v_and_or_b32 v6, 0x1ff, v16, v15
	v_add_nc_u32_e32 v15, 0xfffffc10, v24
	v_lshrrev_b32_e32 v16, 16, v16
	s_wait_alu 0xf1ff
	v_cndmask_b32_e64 v0, 0, 1, s0
	v_lshl_or_b32 v26, v18, 16, v19
	v_cmp_ne_u32_e64 s0, 0, v6
	v_lshl_or_b32 v22, v15, 12, v9
	s_delay_alu instid0(VALU_DEP_4) | instskip(SKIP_4) | instid1(VALU_DEP_2)
	v_or_b32_e32 v17, v17, v0
	ds_load_2addr_b32 v[0:1], v53 offset0:36 offset1:92
	s_wait_alu 0xf1ff
	v_cndmask_b32_e64 v6, 0, 1, s0
	v_cmp_gt_i32_e64 s0, 1, v15
	v_and_or_b32 v24, 0xffe, v20, v6
	v_sub_nc_u32_e32 v6, 0x3f1, v21
	s_wait_alu 0xf1ff
	s_delay_alu instid0(VALU_DEP_3)
	v_cndmask_b32_e64 v20, v22, v17, s0
	v_add_co_u32 v13, s0, v13, s6
	v_or_b32_e32 v22, 0x1000, v24
	v_med3_i32 v25, v6, 0, 13
	v_mul_f64_e32 v[5:6], s[8:9], v[4:5]
	s_wait_alu 0xf1ff
	v_add_co_ci_u32_e64 v14, s0, s7, v14, s0
	v_and_b32_e32 v4, 7, v20
	v_lshrrev_b32_e32 v19, v25, v22
	v_add_co_u32 v17, s0, v13, s6
	s_wait_alu 0xf1ff
	v_add_co_ci_u32_e64 v18, s0, s7, v14, s0
	s_delay_alu instid0(VALU_DEP_3)
	v_lshlrev_b32_e32 v25, v25, v19
	v_cmp_lt_i32_e64 s0, 5, v4
	v_cmp_eq_u32_e64 s1, 3, v4
	v_lshrrev_b32_e32 v20, 2, v20
	s_wait_dscnt 0x0
	v_lshrrev_b32_e32 v4, 16, v0
	v_cmp_ne_u32_e64 s2, v25, v22
	v_add_nc_u32_e32 v21, 0xfffffc10, v21
	s_or_b32 s0, s1, s0
	v_mul_f64_e32 v[11:12], s[8:9], v[11:12]
	s_wait_alu 0xfffe
	v_add_co_ci_u32_e64 v20, s0, 0, v20, s0
	v_cndmask_b32_e64 v22, 0, 1, s2
	v_mul_f16_e32 v25, v28, v4
	v_cmp_ne_u32_e64 s0, 0, v9
	s_delay_alu instid0(VALU_DEP_3) | instskip(SKIP_1) | instid1(VALU_DEP_4)
	v_or_b32_e32 v19, v19, v22
	v_lshl_or_b32 v22, v21, 12, v24
	v_fmac_f16_e32 v25, v106, v0
	s_wait_alu 0xf1ff
	v_cndmask_b32_e64 v9, 0, 1, s0
	v_cmp_gt_i32_e64 s0, 1, v21
	v_mul_f16_e32 v0, v28, v0
	s_delay_alu instid0(VALU_DEP_3) | instskip(SKIP_1) | instid1(VALU_DEP_3)
	v_lshl_or_b32 v9, v9, 9, 0x7c00
	s_wait_alu 0xf1ff
	v_cndmask_b32_e64 v22, v22, v19, s0
	v_cvt_f32_f16_e32 v19, v25
	v_cmp_gt_i32_e64 s0, 31, v15
	v_fma_f16 v0, v106, v4, -v0
	v_and_or_b32 v5, 0x1ff, v6, v5
	v_and_b32_e32 v27, 7, v22
	s_wait_alu 0xf1ff
	v_cndmask_b32_e64 v25, 0x7c00, v20, s0
	v_cvt_f64_f32_e32 v[19:20], v19
	v_cmp_eq_u32_e64 s0, 0x40f, v15
	v_cmp_ne_u32_e64 s1, 0, v5
	v_lshrrev_b32_e32 v15, 8, v6
	v_cvt_f32_f16_e32 v0, v0
	s_wait_alu 0xf1ff
	v_cndmask_b32_e64 v9, v25, v9, s0
	v_cmp_lt_i32_e64 s0, 5, v27
	v_cndmask_b32_e64 v5, 0, 1, s1
	v_cmp_eq_u32_e64 s1, 3, v27
	v_bfe_u32 v25, v6, 20, 11
	v_and_or_b32 v27, 0x8000, v10, v9
	v_lshrrev_b32_e32 v9, 2, v22
	v_and_or_b32 v22, 0xffe, v15, v5
	s_or_b32 s0, s1, s0
	v_sub_nc_u32_e32 v5, 0x3f1, v25
	v_and_or_b32 v4, 0x1ff, v12, v11
	s_wait_alu 0xfffe
	v_add_co_ci_u32_e64 v9, s0, 0, v9, s0
	v_cmp_ne_u32_e64 s0, 0, v24
	v_or_b32_e32 v15, 0x1000, v22
	v_med3_i32 v5, v5, 0, 13
	v_lshrrev_b32_e32 v29, 8, v12
	v_bfe_u32 v30, v12, 20, 11
	s_wait_alu 0xf1ff
	v_cndmask_b32_e64 v10, 0, 1, s0
	v_cmp_gt_i32_e64 s0, 31, v21
	v_lshrrev_b32_e32 v24, v5, v15
	v_lshrrev_b32_e32 v6, 16, v6
	;; [unrolled: 1-line block ×3, first 2 shown]
	v_lshl_or_b32 v10, v10, 9, 0x7c00
	s_wait_alu 0xf1ff
	v_cndmask_b32_e64 v9, 0x7c00, v9, s0
	v_cmp_eq_u32_e64 s0, 0x40f, v21
	v_lshlrev_b32_e32 v21, v5, v24
	s_wait_alu 0xf1ff
	s_delay_alu instid0(VALU_DEP_2)
	v_cndmask_b32_e64 v11, v9, v10, s0
	v_cmp_ne_u32_e64 s0, 0, v4
	v_cvt_f64_f32_e32 v[9:10], v0
	v_mul_f64_e32 v[19:20], s[8:9], v[19:20]
	ds_load_2addr_b32 v[4:5], v51 offset0:14 offset1:70
	v_and_or_b32 v11, 0x8000, v16, v11
	s_wait_alu 0xf1ff
	v_cndmask_b32_e64 v28, 0, 1, s0
	v_cmp_ne_u32_e64 s0, v21, v15
	v_add_nc_u32_e32 v21, 0xfffffc10, v25
	v_sub_nc_u32_e32 v15, 0x3f1, v30
	v_and_b32_e32 v16, 0xffff, v27
	v_and_or_b32 v25, 0xffe, v29, v28
	s_wait_alu 0xf1ff
	v_cndmask_b32_e64 v0, 0, 1, s0
	v_cmp_gt_i32_e64 s0, 1, v21
	v_med3_i32 v15, v15, 0, 13
	v_lshl_or_b32 v11, v11, 16, v16
	v_or_b32_e32 v28, 0x1000, v25
	v_or_b32_e32 v0, v24, v0
	v_lshl_or_b32 v24, v21, 12, v22
	global_store_b32 v[13:14], v23, off
	global_store_b32 v[17:18], v26, off
	v_lshrrev_b32_e32 v29, 16, v104
	v_add_nc_u32_e32 v26, 0xfffffc10, v30
	v_cmp_eq_u32_e64 s2, 0x40f, v21
	s_wait_alu 0xf1ff
	v_cndmask_b32_e64 v0, v24, v0, s0
	v_lshrrev_b32_e32 v24, v15, v28
	v_add_co_u32 v13, s0, v17, s10
	s_wait_dscnt 0x0
	v_lshrrev_b32_e32 v23, 16, v4
	v_and_b32_e32 v16, 7, v0
	v_lshlrev_b32_e32 v15, v15, v24
	s_wait_alu 0xf1ff
	v_add_co_ci_u32_e64 v14, s0, s11, v18, s0
	v_lshrrev_b32_e32 v0, 2, v0
	v_cmp_lt_i32_e64 s0, 5, v16
	v_cmp_ne_u32_e64 s1, v15, v28
	v_mul_f16_e32 v17, v29, v23
	global_store_b32 v[13:14], v11, off
	s_wait_alu 0xf1ff
	v_cndmask_b32_e64 v15, 0, 1, s1
	v_cmp_eq_u32_e64 s1, 3, v16
	v_mul_f64_e32 v[9:10], s[8:9], v[9:10]
	v_fmac_f16_e32 v17, v104, v4
	v_lshl_or_b32 v16, v26, 12, v25
	v_or_b32_e32 v15, v24, v15
	s_or_b32 s0, s1, s0
	v_and_or_b32 v18, 0x1ff, v20, v19
	s_wait_alu 0xfffe
	v_add_co_ci_u32_e64 v0, s0, 0, v0, s0
	v_cmp_gt_i32_e64 s0, 1, v26
	v_cvt_f32_f16_e32 v17, v17
	v_bfe_u32 v24, v20, 20, 11
	v_mul_f16_e32 v4, v29, v4
	s_wait_alu 0xf1ff
	v_cndmask_b32_e64 v19, v16, v15, s0
	v_cmp_ne_u32_e64 s0, 0, v18
	v_cvt_f64_f32_e32 v[15:16], v17
	v_lshrrev_b32_e32 v18, 8, v20
	v_fma_f16 v4, v104, v23, -v4
	v_and_b32_e32 v27, 7, v19
	s_wait_alu 0xf1ff
	v_cndmask_b32_e64 v17, 0, 1, s0
	v_cmp_ne_u32_e64 s0, 0, v22
	v_lshrrev_b32_e32 v19, 2, v19
	v_cvt_f32_f16_e32 v4, v4
	v_cmp_eq_u32_e64 s1, 3, v27
	v_and_or_b32 v28, 0xffe, v18, v17
	s_wait_alu 0xf1ff
	v_cndmask_b32_e64 v22, 0, 1, s0
	v_sub_nc_u32_e32 v17, 0x3f1, v24
	v_cmp_gt_i32_e64 s0, 31, v21
	v_add_nc_u32_e32 v23, 0xfffffc10, v24
	v_lshrrev_b32_e32 v20, 16, v20
	v_lshl_or_b32 v18, v22, 9, 0x7c00
	v_or_b32_e32 v22, 0x1000, v28
	v_med3_i32 v17, v17, 0, 13
	s_wait_alu 0xf1ff
	v_cndmask_b32_e64 v0, 0x7c00, v0, s0
	v_cmp_lt_i32_e64 s0, 5, v27
	s_delay_alu instid0(VALU_DEP_3) | instskip(NEXT) | instid1(VALU_DEP_3)
	v_lshrrev_b32_e32 v21, v17, v22
	v_cndmask_b32_e64 v0, v0, v18, s2
	s_delay_alu instid0(VALU_DEP_3)
	s_or_b32 s0, s1, s0
	v_and_or_b32 v9, 0x1ff, v10, v9
	s_wait_alu 0xfffe
	v_add_co_ci_u32_e64 v18, s0, 0, v19, s0
	v_lshlrev_b32_e32 v17, v17, v21
	v_cmp_gt_i32_e64 s0, 31, v26
	v_lshrrev_b32_e32 v24, 8, v10
	v_bfe_u32 v27, v10, 20, 11
	v_and_or_b32 v0, 0x8000, v6, v0
	s_wait_alu 0xf1ff
	v_cndmask_b32_e64 v19, 0x7c00, v18, s0
	v_cmp_ne_u32_e64 s0, v17, v22
	v_cvt_f64_f32_e32 v[17:18], v4
	v_and_b32_e32 v0, 0xffff, v0
	v_mul_f64_e32 v[15:16], s[8:9], v[15:16]
	s_wait_alu 0xf1ff
	v_cndmask_b32_e64 v22, 0, 1, s0
	v_cmp_ne_u32_e64 s0, 0, v9
	s_delay_alu instid0(VALU_DEP_2) | instskip(SKIP_1) | instid1(VALU_DEP_2)
	v_or_b32_e32 v21, v21, v22
	s_wait_alu 0xf1ff
	v_cndmask_b32_e64 v9, 0, 1, s0
	v_cmp_ne_u32_e64 s0, 0, v25
	v_lshl_or_b32 v22, v23, 12, v28
	s_delay_alu instid0(VALU_DEP_3) | instskip(SKIP_1) | instid1(VALU_DEP_3)
	v_and_or_b32 v9, 0xffe, v24, v9
	s_wait_alu 0xf1ff
	v_cndmask_b32_e64 v4, 0, 1, s0
	v_sub_nc_u32_e32 v24, 0x3f1, v27
	v_cmp_gt_i32_e64 s0, 1, v23
	v_or_b32_e32 v25, 0x1000, v9
	s_delay_alu instid0(VALU_DEP_4) | instskip(NEXT) | instid1(VALU_DEP_4)
	v_lshl_or_b32 v4, v4, 9, 0x7c00
	v_med3_i32 v24, v24, 0, 13
	s_wait_alu 0xf1ff
	v_cndmask_b32_e64 v21, v22, v21, s0
	v_cmp_eq_u32_e64 s0, 0x40f, v26
	s_delay_alu instid0(VALU_DEP_2) | instskip(SKIP_1) | instid1(VALU_DEP_2)
	v_and_b32_e32 v6, 7, v21
	s_wait_alu 0xf1ff
	v_cndmask_b32_e64 v4, v19, v4, s0
	v_lshrrev_b32_e32 v19, v24, v25
	s_delay_alu instid0(VALU_DEP_3) | instskip(NEXT) | instid1(VALU_DEP_3)
	v_cmp_lt_i32_e64 s0, 5, v6
	v_and_or_b32 v22, 0x8000, v12, v4
	s_delay_alu instid0(VALU_DEP_3)
	v_lshlrev_b32_e32 v4, v24, v19
	v_cmp_eq_u32_e64 s1, 3, v6
	v_lshrrev_b32_e32 v6, 2, v21
	v_add_nc_u32_e32 v21, 0xfffffc10, v27
	v_lshrrev_b32_e32 v24, 16, v3
	v_cmp_ne_u32_e64 s2, v4, v25
	s_or_b32 s0, s1, s0
	v_lshrrev_b32_e32 v27, 16, v102
	s_wait_alu 0xfffe
	v_add_co_ci_u32_e64 v6, s0, 0, v6, s0
	v_cndmask_b32_e64 v4, 0, 1, s2
	v_cmp_ne_u32_e64 s0, 0, v28
	v_lshl_or_b32 v11, v21, 12, v9
	v_and_or_b32 v15, 0x1ff, v16, v15
	v_lshrrev_b32_e32 v25, 8, v16
	v_or_b32_e32 v4, v19, v4
	s_wait_alu 0xf1ff
	v_cndmask_b32_e64 v19, 0, 1, s0
	v_cmp_gt_i32_e64 s0, 1, v21
	v_bfe_u32 v26, v16, 20, 11
	v_cmp_eq_u32_e64 s2, 0x40f, v23
	v_lshl_or_b32 v0, v22, 16, v0
	v_lshl_or_b32 v19, v19, 9, 0x7c00
	s_wait_alu 0xf1ff
	v_cndmask_b32_e64 v4, v11, v4, s0
	v_mul_f64_e32 v[11:12], s[8:9], v[17:18]
	v_mul_f16_e32 v17, v27, v24
	v_cmp_gt_i32_e64 s0, 31, v23
	v_lshrrev_b32_e32 v16, 16, v16
	v_and_b32_e32 v18, 7, v4
	v_lshrrev_b32_e32 v4, 2, v4
	v_fmac_f16_e32 v17, v102, v3
	s_wait_alu 0xf1ff
	v_cndmask_b32_e64 v6, 0x7c00, v6, s0
	v_cmp_ne_u32_e64 s0, 0, v15
	v_cmp_eq_u32_e64 s1, 3, v18
	v_mul_f16_e32 v3, v27, v3
	v_cvt_f32_f16_e32 v17, v17
	v_cndmask_b32_e64 v6, v6, v19, s2
	s_wait_alu 0xf1ff
	v_cndmask_b32_e64 v15, 0, 1, s0
	v_cmp_lt_i32_e64 s0, 5, v18
	v_fma_f16 v3, v102, v24, -v3
	v_cvt_f64_f32_e32 v[17:18], v17
	v_and_or_b32 v6, 0x8000, v20, v6
	v_and_or_b32 v15, 0xffe, v25, v15
	v_sub_nc_u32_e32 v25, 0x3f1, v26
	s_or_b32 s0, s1, s0
	v_cvt_f32_f16_e32 v3, v3
	s_wait_alu 0xfffe
	v_add_co_ci_u32_e64 v4, s0, 0, v4, s0
	v_or_b32_e32 v19, 0x1000, v15
	v_med3_i32 v23, v25, 0, 13
	v_cmp_ne_u32_e64 s0, 0, v9
	v_and_b32_e32 v6, 0xffff, v6
	v_lshrrev_b32_e32 v27, 16, v100
	s_delay_alu instid0(VALU_DEP_4) | instskip(SKIP_3) | instid1(VALU_DEP_3)
	v_lshrrev_b32_e32 v25, v23, v19
	s_wait_alu 0xf1ff
	v_cndmask_b32_e64 v9, 0, 1, s0
	v_cmp_gt_i32_e64 s0, 31, v21
	v_lshlrev_b32_e32 v20, v23, v25
	s_delay_alu instid0(VALU_DEP_3) | instskip(SKIP_1) | instid1(VALU_DEP_3)
	v_lshl_or_b32 v9, v9, 9, 0x7c00
	s_wait_alu 0xf1ff
	v_cndmask_b32_e64 v4, 0x7c00, v4, s0
	v_cmp_eq_u32_e64 s0, 0x40f, v21
	v_bfe_u32 v23, v12, 20, 11
	s_wait_alu 0xf1ff
	s_delay_alu instid0(VALU_DEP_2)
	v_cndmask_b32_e64 v21, v4, v9, s0
	v_and_or_b32 v4, 0x1ff, v12, v11
	v_cmp_ne_u32_e64 s0, v20, v19
	v_add_nc_u32_e32 v11, 0xfffffc10, v26
	v_lshrrev_b32_e32 v20, 8, v12
	s_wait_alu 0xf1ff
	s_delay_alu instid0(VALU_DEP_3) | instskip(SKIP_3) | instid1(VALU_DEP_4)
	v_cndmask_b32_e64 v9, 0, 1, s0
	v_cmp_ne_u32_e64 s0, 0, v4
	v_cvt_f64_f32_e32 v[3:4], v3
	v_lshl_or_b32 v24, v11, 12, v15
	v_or_b32_e32 v9, v25, v9
	s_wait_alu 0xf1ff
	v_cndmask_b32_e64 v19, 0, 1, s0
	v_cmp_gt_i32_e64 s0, 1, v11
	v_lshrrev_b32_e32 v25, 16, v10
	s_delay_alu instid0(VALU_DEP_3)
	v_and_or_b32 v26, 0xffe, v20, v19
	v_sub_nc_u32_e32 v19, 0x3f1, v23
	s_wait_alu 0xf1ff
	v_cndmask_b32_e64 v20, v24, v9, s0
	v_mul_f64_e32 v[9:10], s[8:9], v[17:18]
	v_add_co_u32 v13, s0, v13, s6
	v_or_b32_e32 v17, 0x1000, v26
	v_med3_i32 v18, v19, 0, 13
	v_and_or_b32 v19, 0x8000, v25, v21
	v_and_b32_e32 v21, 7, v20
	s_wait_alu 0xf1ff
	v_add_co_ci_u32_e64 v14, s0, s7, v14, s0
	v_lshrrev_b32_e32 v22, v18, v17
	v_lshl_or_b32 v6, v19, 16, v6
	v_cmp_lt_i32_e64 s0, 5, v21
	v_cmp_eq_u32_e64 s1, 3, v21
	v_lshrrev_b32_e32 v19, 2, v20
	v_lshlrev_b32_e32 v18, v18, v22
	v_lshrrev_b32_e32 v21, 16, v2
	v_add_nc_u32_e32 v23, 0xfffffc10, v23
	s_or_b32 s0, s1, s0
	s_delay_alu instid0(VALU_DEP_3)
	v_cmp_ne_u32_e64 s2, v18, v17
	s_wait_alu 0xfffe
	v_add_co_ci_u32_e64 v19, s0, 0, v19, s0
	v_mul_f16_e32 v18, v27, v21
	v_cmp_ne_u32_e64 s0, 0, v15
	s_wait_alu 0xf1ff
	v_cndmask_b32_e64 v17, 0, 1, s2
	v_lshl_or_b32 v20, v23, 12, v26
	v_mul_f64_e32 v[3:4], s[8:9], v[3:4]
	v_fmac_f16_e32 v18, v100, v2
	v_cndmask_b32_e64 v15, 0, 1, s0
	v_or_b32_e32 v17, v22, v17
	v_cmp_gt_i32_e64 s0, 1, v23
	s_delay_alu instid0(VALU_DEP_3) | instskip(SKIP_1) | instid1(VALU_DEP_2)
	v_lshl_or_b32 v15, v15, 9, 0x7c00
	s_wait_alu 0xf1ff
	v_cndmask_b32_e64 v22, v20, v17, s0
	v_cvt_f32_f16_e32 v17, v18
	v_cmp_gt_i32_e64 s0, 31, v11
	v_and_or_b32 v9, 0x1ff, v10, v9
	s_delay_alu instid0(VALU_DEP_4) | instskip(NEXT) | instid1(VALU_DEP_4)
	v_and_b32_e32 v25, 7, v22
	v_cvt_f64_f32_e32 v[17:18], v17
	s_wait_alu 0xf1ff
	v_cndmask_b32_e64 v24, 0x7c00, v19, s0
	v_add_co_u32 v19, s0, v13, s6
	s_wait_alu 0xf1ff
	v_add_co_ci_u32_e64 v20, s0, s7, v14, s0
	v_cmp_eq_u32_e64 s0, 0x40f, v11
	v_cmp_ne_u32_e64 s1, 0, v9
	v_lshrrev_b32_e32 v22, 2, v22
	global_store_b32 v[13:14], v0, off
	global_store_b32 v[19:20], v6, off
	s_wait_alu 0xf1ff
	v_cndmask_b32_e64 v11, v24, v15, s0
	v_cmp_lt_i32_e64 s0, 5, v25
	v_cndmask_b32_e64 v9, 0, 1, s1
	v_cmp_eq_u32_e64 s1, 3, v25
	v_lshrrev_b32_e32 v15, 8, v10
	v_bfe_u32 v24, v10, 20, 11
	v_and_or_b32 v16, 0x8000, v16, v11
	v_lshrrev_b32_e32 v10, 16, v10
	s_or_b32 s0, s1, s0
	v_and_or_b32 v9, 0xffe, v15, v9
	s_wait_alu 0xfffe
	v_add_co_ci_u32_e64 v22, s0, 0, v22, s0
	v_sub_nc_u32_e32 v15, 0x3f1, v24
	v_cmp_ne_u32_e64 s0, 0, v26
	v_or_b32_e32 v26, 0x1000, v9
	v_and_or_b32 v3, 0x1ff, v4, v3
	v_bfe_u32 v28, v4, 20, 11
	v_med3_i32 v15, v15, 0, 13
	s_wait_alu 0xf1ff
	v_cndmask_b32_e64 v25, 0, 1, s0
	v_cmp_gt_i32_e64 s0, 31, v23
	v_and_b32_e32 v16, 0xffff, v16
	v_lshrrev_b32_e32 v11, v15, v26
	s_delay_alu instid0(VALU_DEP_4)
	v_lshl_or_b32 v25, v25, 9, 0x7c00
	s_wait_alu 0xf1ff
	v_cndmask_b32_e64 v22, 0x7c00, v22, s0
	v_cmp_eq_u32_e64 s0, 0x40f, v23
	v_lshrrev_b32_e32 v23, 16, v12
	v_lshlrev_b32_e32 v12, v15, v11
	v_mul_f16_e32 v15, v27, v2
	v_lshrrev_b32_e32 v27, 8, v4
	s_wait_alu 0xf1ff
	v_cndmask_b32_e64 v22, v22, v25, s0
	v_cmp_ne_u32_e64 s0, 0, v3
	v_mul_f64_e32 v[2:3], s[8:9], v[17:18]
	v_fma_f16 v15, v100, v21, -v15
	v_sub_nc_u32_e32 v21, 0x3f1, v28
	v_add_nc_u32_e32 v17, 0xfffffc10, v24
	s_wait_alu 0xf1ff
	v_cndmask_b32_e64 v25, 0, 1, s0
	v_cmp_ne_u32_e64 s0, v12, v26
	v_cvt_f32_f16_e32 v15, v15
	v_lshrrev_b32_e32 v4, 16, v4
	v_cmp_eq_u32_e64 s2, 0x40f, v17
	v_and_or_b32 v18, 0xffe, v27, v25
	s_wait_alu 0xf1ff
	v_cndmask_b32_e64 v12, 0, 1, s0
	v_lshl_or_b32 v25, v17, 12, v9
	v_cmp_gt_i32_e64 s0, 1, v17
	v_or_b32_e32 v26, 0x1000, v18
	s_delay_alu instid0(VALU_DEP_4)
	v_or_b32_e32 v24, v11, v12
	v_cvt_f64_f32_e32 v[11:12], v15
	v_med3_i32 v15, v21, 0, 13
	v_and_or_b32 v21, 0x8000, v23, v22
	s_wait_alu 0xf1ff
	v_cndmask_b32_e64 v22, v25, v24, s0
	v_add_co_u32 v13, s0, v19, s6
	v_lshrrev_b32_e32 v23, v15, v26
	s_wait_alu 0xf1ff
	v_add_co_ci_u32_e64 v14, s0, s7, v20, s0
	v_and_b32_e32 v0, 7, v22
	v_add_nc_u32_e32 v20, 0xfffffc10, v28
	v_lshlrev_b32_e32 v15, v15, v23
	v_lshl_or_b32 v6, v21, 16, v16
	v_lshrrev_b32_e32 v19, 16, v1
	v_cmp_lt_i32_e64 s0, 5, v0
	v_lshl_or_b32 v21, v20, 12, v18
	v_cmp_ne_u32_e64 s1, v15, v26
	v_lshrrev_b32_e32 v26, 16, v98
	s_wait_alu 0xf1ff
	s_delay_alu instid0(VALU_DEP_2)
	v_cndmask_b32_e64 v15, 0, 1, s1
	v_cmp_eq_u32_e64 s1, 3, v0
	v_lshrrev_b32_e32 v0, 2, v22
	v_and_or_b32 v2, 0x1ff, v3, v2
	v_lshrrev_b32_e32 v22, 8, v3
	v_or_b32_e32 v15, v23, v15
	s_or_b32 s0, s1, s0
	v_bfe_u32 v23, v3, 20, 11
	s_wait_alu 0xfffe
	v_add_co_ci_u32_e64 v0, s0, 0, v0, s0
	v_cmp_gt_i32_e64 s0, 1, v20
	v_mul_f16_e32 v16, v26, v19
	s_wait_alu 0xf1ff
	s_delay_alu instid0(VALU_DEP_2) | instskip(SKIP_1) | instid1(VALU_DEP_3)
	v_cndmask_b32_e64 v21, v21, v15, s0
	v_cmp_ne_u32_e64 s0, 0, v2
	v_fmac_f16_e32 v16, v98, v1
	v_mul_f64_e32 v[11:12], s[8:9], v[11:12]
	s_delay_alu instid0(VALU_DEP_4)
	v_and_b32_e32 v24, 7, v21
	s_wait_alu 0xf1ff
	v_cndmask_b32_e64 v2, 0, 1, s0
	v_cmp_ne_u32_e64 s0, 0, v9
	v_lshrrev_b32_e32 v21, 2, v21
	v_cvt_f32_f16_e32 v16, v16
	v_cmp_eq_u32_e64 s1, 3, v24
	v_and_or_b32 v2, 0xffe, v22, v2
	s_wait_alu 0xf1ff
	v_cndmask_b32_e64 v9, 0, 1, s0
	v_cmp_gt_i32_e64 s0, 31, v17
	v_sub_nc_u32_e32 v22, 0x3f1, v23
	v_cvt_f64_f32_e32 v[15:16], v16
	v_or_b32_e32 v25, 0x1000, v2
	v_lshl_or_b32 v9, v9, 9, 0x7c00
	s_wait_alu 0xf1ff
	v_cndmask_b32_e64 v0, 0x7c00, v0, s0
	v_cmp_lt_i32_e64 s0, 5, v24
	v_med3_i32 v22, v22, 0, 13
	v_add_nc_u32_e32 v23, 0xfffffc10, v23
	s_delay_alu instid0(VALU_DEP_4) | instskip(NEXT) | instid1(VALU_DEP_4)
	v_cndmask_b32_e64 v0, v0, v9, s2
	s_or_b32 s0, s1, s0
	s_delay_alu instid0(VALU_DEP_3) | instskip(SKIP_3) | instid1(VALU_DEP_3)
	v_lshrrev_b32_e32 v9, v22, v25
	s_wait_alu 0xfffe
	v_add_co_ci_u32_e64 v17, s0, 0, v21, s0
	v_cmp_ne_u32_e64 s0, 0, v18
	v_lshlrev_b32_e32 v21, v22, v9
	v_and_or_b32 v22, 0x8000, v10, v0
	s_wait_alu 0xf1ff
	s_delay_alu instid0(VALU_DEP_3) | instskip(SKIP_1) | instid1(VALU_DEP_2)
	v_cndmask_b32_e64 v18, 0, 1, s0
	v_cmp_gt_i32_e64 s0, 31, v20
	v_lshl_or_b32 v18, v18, 9, 0x7c00
	s_wait_alu 0xf1ff
	s_delay_alu instid0(VALU_DEP_2)
	v_cndmask_b32_e64 v17, 0x7c00, v17, s0
	v_cmp_ne_u32_e64 s0, v21, v25
	scratch_load_b32 v25, off, off th:TH_LOAD_LU ; 4-byte Folded Reload
	v_and_or_b32 v11, 0x1ff, v12, v11
	s_wait_alu 0xf1ff
	v_cndmask_b32_e64 v21, 0, 1, s0
	v_cmp_eq_u32_e64 s0, 0x40f, v20
	v_and_b32_e32 v20, 0xffff, v22
	s_delay_alu instid0(VALU_DEP_3) | instskip(SKIP_1) | instid1(VALU_DEP_3)
	v_or_b32_e32 v9, v9, v21
	s_wait_alu 0xf1ff
	v_cndmask_b32_e64 v10, v17, v18, s0
	v_mul_f16_e32 v17, v26, v1
	scratch_load_b32 v26, off, off offset:4 th:TH_LOAD_LU ; 4-byte Folded Reload
	v_mul_f64_e32 v[0:1], s[8:9], v[15:16]
	v_lshl_or_b32 v15, v23, 12, v2
	v_cmp_gt_i32_e64 s0, 1, v23
	v_fma_f16 v16, v98, v19, -v17
	v_bfe_u32 v17, v12, 20, 11
	v_and_or_b32 v4, 0x8000, v4, v10
	v_lshrrev_b32_e32 v19, 16, v5
	s_wait_alu 0xf1ff
	v_cndmask_b32_e64 v15, v15, v9, s0
	v_cmp_ne_u32_e64 s0, 0, v11
	v_cvt_f32_f16_e32 v9, v16
	v_lshrrev_b32_e32 v16, 8, v12
	v_lshrrev_b32_e32 v12, 16, v12
	v_and_b32_e32 v18, 7, v15
	s_wait_alu 0xf1ff
	v_cndmask_b32_e64 v11, 0, 1, s0
	v_cvt_f64_f32_e32 v[9:10], v9
	s_delay_alu instid0(VALU_DEP_3) | instskip(NEXT) | instid1(VALU_DEP_3)
	v_cmp_lt_i32_e64 s0, 5, v18
	v_and_or_b32 v11, 0xffe, v16, v11
	v_sub_nc_u32_e32 v16, 0x3f1, v17
	v_cmp_eq_u32_e64 s1, 3, v18
	v_lshl_or_b32 v18, v4, 16, v20
	v_lshrrev_b32_e32 v4, 2, v15
	v_or_b32_e32 v21, 0x1000, v11
	v_med3_i32 v16, v16, 0, 13
	s_or_b32 s0, s1, s0
	v_add_nc_u32_e32 v17, 0xfffffc10, v17
	s_wait_alu 0xfffe
	v_add_co_ci_u32_e64 v4, s0, 0, v4, s0
	v_lshrrev_b32_e32 v20, v16, v21
	v_cmp_ne_u32_e64 s0, 0, v2
	s_delay_alu instid0(VALU_DEP_2) | instskip(SKIP_1) | instid1(VALU_DEP_2)
	v_lshlrev_b32_e32 v24, v16, v20
	s_wait_alu 0xf1ff
	v_cndmask_b32_e64 v2, 0, 1, s0
	v_cmp_gt_i32_e64 s0, 31, v23
	v_and_or_b32 v0, 0x1ff, v1, v0
	s_delay_alu instid0(VALU_DEP_3) | instskip(SKIP_2) | instid1(VALU_DEP_1)
	v_lshl_or_b32 v2, v2, 9, 0x7c00
	s_wait_loadcnt 0x0
	v_mul_f16_e32 v22, v26, v19
	v_fmac_f16_e32 v22, v25, v5
	v_mul_f16_e32 v5, v26, v5
	s_delay_alu instid0(VALU_DEP_2)
	v_cvt_f32_f16_e32 v15, v22
	s_wait_alu 0xf1ff
	v_cndmask_b32_e64 v22, 0x7c00, v4, s0
	v_cmp_ne_u32_e64 s0, v24, v21
	v_lshrrev_b32_e32 v21, 8, v1
	v_bfe_u32 v24, v1, 20, 11
	v_cvt_f64_f32_e32 v[15:16], v15
	v_fma_f16 v19, v25, v19, -v5
	s_wait_alu 0xf1ff
	v_cndmask_b32_e64 v4, 0, 1, s0
	v_cmp_ne_u32_e64 s0, 0, v0
	v_lshl_or_b32 v25, v17, 12, v11
	v_lshrrev_b32_e32 v1, 16, v1
	s_delay_alu instid0(VALU_DEP_4)
	v_or_b32_e32 v20, v20, v4
	s_wait_alu 0xf1ff
	v_cndmask_b32_e64 v0, 0, 1, s0
	v_cmp_gt_i32_e64 s0, 1, v17
	v_mul_f64_e32 v[4:5], s[8:9], v[9:10]
	v_sub_nc_u32_e32 v9, 0x3f1, v24
	v_cvt_f32_f16_e32 v10, v19
	v_and_or_b32 v0, 0xffe, v21, v0
	s_wait_alu 0xf1ff
	v_cndmask_b32_e64 v19, v25, v20, s0
	v_cmp_eq_u32_e64 s0, 0x40f, v23
	v_med3_i32 v21, v9, 0, 13
	v_cvt_f64_f32_e32 v[9:10], v10
	v_or_b32_e32 v20, 0x1000, v0
	v_and_b32_e32 v25, 7, v19
	s_wait_alu 0xf1ff
	v_cndmask_b32_e64 v22, v22, v2, s0
	v_add_co_u32 v2, s0, v13, s10
	v_lshrrev_b32_e32 v26, v21, v20
	v_lshrrev_b32_e32 v23, 16, v3
	s_wait_alu 0xf1ff
	v_add_co_ci_u32_e64 v3, s0, s11, v14, s0
	v_cmp_lt_i32_e64 s0, 5, v25
	v_cmp_eq_u32_e64 s1, 3, v25
	v_lshrrev_b32_e32 v19, 2, v19
	v_lshlrev_b32_e32 v21, v21, v26
	v_and_or_b32 v22, 0x8000, v23, v22
	s_delay_alu instid0(VALU_DEP_4)
	s_or_b32 s0, s1, s0
	s_wait_alu 0xfffe
	v_add_co_ci_u32_e64 v19, s0, 0, v19, s0
	v_cmp_ne_u32_e64 s2, v21, v20
	v_cmp_ne_u32_e64 s0, 0, v11
	v_mul_f64_e32 v[15:16], s[8:9], v[15:16]
	v_add_nc_u32_e32 v21, 0xfffffc10, v24
	s_wait_alu 0xf1ff
	v_cndmask_b32_e64 v20, 0, 1, s2
	v_cndmask_b32_e64 v11, 0, 1, s0
	v_cmp_gt_i32_e64 s0, 31, v17
	v_lshl_or_b32 v23, v21, 12, v0
	s_delay_alu instid0(VALU_DEP_4) | instskip(NEXT) | instid1(VALU_DEP_4)
	v_or_b32_e32 v20, v26, v20
	v_lshl_or_b32 v11, v11, 9, 0x7c00
	s_wait_alu 0xf1ff
	v_cndmask_b32_e64 v19, 0x7c00, v19, s0
	v_cmp_gt_i32_e64 s0, 1, v21
	v_and_or_b32 v4, 0x1ff, v5, v4
	s_wait_alu 0xf1ff
	s_delay_alu instid0(VALU_DEP_2) | instskip(SKIP_3) | instid1(VALU_DEP_4)
	v_cndmask_b32_e64 v20, v23, v20, s0
	v_cmp_eq_u32_e64 s0, 0x40f, v17
	v_mul_f64_e32 v[9:10], s[8:9], v[9:10]
	v_bfe_u32 v23, v5, 20, 11
	v_and_b32_e32 v17, 7, v20
	s_wait_alu 0xf1ff
	v_cndmask_b32_e64 v11, v19, v11, s0
	v_cmp_ne_u32_e64 s0, 0, v4
	v_lshrrev_b32_e32 v19, 8, v5
	v_lshrrev_b32_e32 v5, 16, v5
	v_cmp_eq_u32_e64 s1, 3, v17
	v_and_or_b32 v11, 0x8000, v12, v11
	v_and_b32_e32 v12, 0xffff, v22
	s_wait_alu 0xf1ff
	v_cndmask_b32_e64 v4, 0, 1, s0
	v_cmp_lt_i32_e64 s0, 5, v17
	s_delay_alu instid0(VALU_DEP_3) | instskip(SKIP_1) | instid1(VALU_DEP_4)
	v_lshl_or_b32 v11, v11, 16, v12
	v_lshrrev_b32_e32 v12, 2, v20
	v_and_or_b32 v4, 0xffe, v19, v4
	v_sub_nc_u32_e32 v19, 0x3f1, v23
	s_or_b32 s0, s1, s0
	v_and_or_b32 v15, 0x1ff, v16, v15
	s_wait_alu 0xfffe
	v_add_co_ci_u32_e64 v12, s0, 0, v12, s0
	v_or_b32_e32 v17, 0x1000, v4
	v_med3_i32 v19, v19, 0, 13
	v_cmp_ne_u32_e64 s0, 0, v0
	v_lshrrev_b32_e32 v22, 8, v16
	v_bfe_u32 v24, v16, 20, 11
	s_delay_alu instid0(VALU_DEP_4) | instskip(SKIP_3) | instid1(VALU_DEP_3)
	v_lshrrev_b32_e32 v20, v19, v17
	s_wait_alu 0xf1ff
	v_cndmask_b32_e64 v0, 0, 1, s0
	v_cmp_gt_i32_e64 s0, 31, v21
	v_lshlrev_b32_e32 v19, v19, v20
	s_delay_alu instid0(VALU_DEP_3) | instskip(SKIP_1) | instid1(VALU_DEP_3)
	v_lshl_or_b32 v0, v0, 9, 0x7c00
	s_wait_alu 0xf1ff
	v_cndmask_b32_e64 v12, 0x7c00, v12, s0
	v_cmp_ne_u32_e64 s0, 0, v15
	v_and_or_b32 v9, 0x1ff, v10, v9
	s_wait_alu 0xf1ff
	s_delay_alu instid0(VALU_DEP_2) | instskip(SKIP_3) | instid1(VALU_DEP_4)
	v_cndmask_b32_e64 v15, 0, 1, s0
	v_cmp_ne_u32_e64 s0, v19, v17
	v_add_nc_u32_e32 v19, 0xfffffc10, v23
	v_bfe_u32 v23, v10, 20, 11
	v_and_or_b32 v15, 0xffe, v22, v15
	s_wait_alu 0xf1ff
	v_cndmask_b32_e64 v17, 0, 1, s0
	v_sub_nc_u32_e32 v22, 0x3f1, v24
	v_cmp_eq_u32_e64 s0, 0x40f, v21
	s_delay_alu instid0(VALU_DEP_2) | instskip(SKIP_1) | instid1(VALU_DEP_2)
	v_med3_i32 v21, v22, 0, 13
	s_wait_alu 0xf1ff
	v_cndmask_b32_e64 v0, v12, v0, s0
	v_or_b32_e32 v12, v20, v17
	v_lshl_or_b32 v17, v19, 12, v4
	v_or_b32_e32 v20, 0x1000, v15
	v_cmp_gt_i32_e64 s0, 1, v19
	v_lshrrev_b32_e32 v22, 8, v10
	v_and_or_b32 v0, 0x8000, v1, v0
	s_wait_alu 0xf1ff
	s_delay_alu instid0(VALU_DEP_3) | instskip(SKIP_3) | instid1(VALU_DEP_4)
	v_cndmask_b32_e64 v12, v17, v12, s0
	v_lshrrev_b32_e32 v17, v21, v20
	v_cmp_ne_u32_e64 s0, 0, v9
	v_and_b32_e32 v0, 0xffff, v0
	v_and_b32_e32 v25, 7, v12
	s_delay_alu instid0(VALU_DEP_4)
	v_lshlrev_b32_e32 v21, v21, v17
	s_wait_alu 0xf1ff
	v_cndmask_b32_e64 v9, 0, 1, s0
	v_lshrrev_b32_e32 v12, 2, v12
	v_cmp_lt_i32_e64 s0, 5, v25
	v_cmp_ne_u32_e64 s1, v21, v20
	s_delay_alu instid0(VALU_DEP_4)
	v_and_or_b32 v1, 0xffe, v22, v9
	v_sub_nc_u32_e32 v9, 0x3f1, v23
	v_add_nc_u32_e32 v22, 0xfffffc10, v24
	s_wait_alu 0xf1ff
	v_cndmask_b32_e64 v20, 0, 1, s1
	v_cmp_eq_u32_e64 s1, 3, v25
	v_or_b32_e32 v21, 0x1000, v1
	v_med3_i32 v9, v9, 0, 13
	v_lshl_or_b32 v24, v22, 12, v15
	v_or_b32_e32 v17, v17, v20
	s_or_b32 s0, s1, s0
	s_wait_alu 0xfffe
	v_add_co_ci_u32_e64 v12, s0, 0, v12, s0
	v_lshrrev_b32_e32 v20, v9, v21
	v_cmp_gt_i32_e64 s0, 1, v22
	s_delay_alu instid0(VALU_DEP_2) | instskip(SKIP_1) | instid1(VALU_DEP_2)
	v_lshlrev_b32_e32 v9, v9, v20
	s_wait_alu 0xf1ff
	v_cndmask_b32_e64 v17, v24, v17, s0
	v_cmp_ne_u32_e64 s0, 0, v4
	s_wait_alu 0xf1ff
	s_delay_alu instid0(VALU_DEP_1) | instskip(SKIP_3) | instid1(VALU_DEP_4)
	v_cndmask_b32_e64 v4, 0, 1, s0
	v_cmp_ne_u32_e64 s0, v9, v21
	v_add_nc_u32_e32 v21, 0xfffffc10, v23
	v_and_b32_e32 v23, 7, v17
	v_lshl_or_b32 v4, v4, 9, 0x7c00
	s_wait_alu 0xf1ff
	v_cndmask_b32_e64 v9, 0, 1, s0
	v_cmp_gt_i32_e64 s0, 31, v19
	v_cmp_gt_i32_e64 s2, 1, v21
	v_cmp_eq_u32_e64 s1, 3, v23
	s_delay_alu instid0(VALU_DEP_4) | instskip(SKIP_4) | instid1(VALU_DEP_3)
	v_or_b32_e32 v9, v20, v9
	v_lshl_or_b32 v20, v21, 12, v1
	s_wait_alu 0xf1ff
	v_cndmask_b32_e64 v12, 0x7c00, v12, s0
	v_cmp_lt_i32_e64 s0, 5, v23
	v_cndmask_b32_e64 v9, v20, v9, s2
	v_cmp_eq_u32_e64 s2, 0x40f, v19
	s_delay_alu instid0(VALU_DEP_3) | instskip(NEXT) | instid1(VALU_DEP_1)
	s_or_b32 s0, s1, s0
	v_cndmask_b32_e64 v4, v12, v4, s2
	v_lshrrev_b32_e32 v12, 2, v17
	v_and_b32_e32 v17, 7, v9
	v_lshrrev_b32_e32 v9, 2, v9
	v_cmp_gt_i32_e64 s2, 31, v22
	s_wait_alu 0xfffe
	v_add_co_ci_u32_e64 v12, s0, 0, v12, s0
	v_cmp_ne_u32_e64 s0, 0, v15
	v_cmp_eq_u32_e64 s1, 3, v17
	s_wait_alu 0xf1ff
	s_delay_alu instid0(VALU_DEP_3) | instskip(NEXT) | instid1(VALU_DEP_3)
	v_cndmask_b32_e64 v12, 0x7c00, v12, s2
	v_cndmask_b32_e64 v15, 0, 1, s0
	v_cmp_lt_i32_e64 s0, 5, v17
	s_delay_alu instid0(VALU_DEP_2) | instskip(NEXT) | instid1(VALU_DEP_2)
	v_lshl_or_b32 v15, v15, 9, 0x7c00
	s_or_b32 s0, s1, s0
	s_wait_alu 0xfffe
	v_add_co_ci_u32_e64 v9, s0, 0, v9, s0
	v_cmp_ne_u32_e64 s0, 0, v1
	s_wait_alu 0xf1ff
	s_delay_alu instid0(VALU_DEP_1) | instskip(SKIP_1) | instid1(VALU_DEP_2)
	v_cndmask_b32_e64 v1, 0, 1, s0
	v_cmp_eq_u32_e64 s0, 0x40f, v22
	v_lshl_or_b32 v1, v1, 9, 0x7c00
	s_wait_alu 0xf1ff
	s_delay_alu instid0(VALU_DEP_2) | instskip(SKIP_4) | instid1(VALU_DEP_3)
	v_cndmask_b32_e64 v12, v12, v15, s0
	v_cmp_gt_i32_e64 s0, 31, v21
	v_lshrrev_b32_e32 v15, 16, v16
	v_and_or_b32 v16, 0x8000, v5, v4
	s_wait_alu 0xf1ff
	v_cndmask_b32_e64 v9, 0x7c00, v9, s0
	v_cmp_eq_u32_e64 s0, 0x40f, v21
	v_and_or_b32 v12, 0x8000, v15, v12
	v_lshl_or_b32 v15, v16, 16, v0
	s_wait_alu 0xf1ff
	s_delay_alu instid0(VALU_DEP_3) | instskip(SKIP_4) | instid1(VALU_DEP_3)
	v_cndmask_b32_e64 v1, v9, v1, s0
	v_lshrrev_b32_e32 v9, 16, v10
	v_add_co_u32 v4, s0, v2, s6
	s_wait_alu 0xf1ff
	v_add_co_ci_u32_e64 v5, s0, s7, v3, s0
	v_and_or_b32 v0, 0x8000, v9, v1
	v_and_b32_e32 v1, 0xffff, v12
	v_add_co_u32 v9, s0, v4, s6
	s_wait_alu 0xf1ff
	v_add_co_ci_u32_e64 v10, s0, s7, v5, s0
	s_delay_alu instid0(VALU_DEP_3) | instskip(NEXT) | instid1(VALU_DEP_3)
	v_lshl_or_b32 v12, v0, 16, v1
	v_add_co_u32 v0, s0, v9, s6
	s_wait_alu 0xf1ff
	s_delay_alu instid0(VALU_DEP_3)
	v_add_co_ci_u32_e64 v1, s0, s7, v10, s0
	global_store_b32 v[13:14], v6, off
	global_store_b32 v[2:3], v18, off
	;; [unrolled: 1-line block ×5, first 2 shown]
	s_and_b32 exec_lo, exec_lo, vcc_lo
	s_cbranch_execz .LBB0_25
; %bb.24:
	global_load_b32 v2, v[48:49], off offset:1792
	ds_load_b32 v3, v96 offset:1792
	ds_load_b32 v6, v96 offset:3752
	;; [unrolled: 1-line block ×4, first 2 shown]
	v_mad_co_u64_u32 v[0:1], null, 0xfffff190, s4, v[0:1]
	s_wait_dscnt 0x3
	v_lshrrev_b32_e32 v4, 16, v3
	s_wait_loadcnt 0x0
	v_lshrrev_b32_e32 v5, 16, v2
	s_delay_alu instid0(VALU_DEP_1) | instskip(SKIP_1) | instid1(VALU_DEP_2)
	v_mul_f16_e32 v9, v4, v5
	v_mul_f16_e32 v5, v3, v5
	v_fmac_f16_e32 v9, v3, v2
	s_delay_alu instid0(VALU_DEP_2) | instskip(NEXT) | instid1(VALU_DEP_2)
	v_fma_f16 v2, v2, v4, -v5
	v_cvt_f32_f16_e32 v3, v9
	s_delay_alu instid0(VALU_DEP_2) | instskip(NEXT) | instid1(VALU_DEP_2)
	v_cvt_f32_f16_e32 v4, v2
	v_cvt_f64_f32_e32 v[2:3], v3
	s_delay_alu instid0(VALU_DEP_2) | instskip(NEXT) | instid1(VALU_DEP_2)
	v_cvt_f64_f32_e32 v[4:5], v4
	v_mul_f64_e32 v[2:3], s[8:9], v[2:3]
	s_delay_alu instid0(VALU_DEP_2) | instskip(NEXT) | instid1(VALU_DEP_2)
	v_mul_f64_e32 v[4:5], s[8:9], v[4:5]
	v_and_or_b32 v2, 0x1ff, v3, v2
	s_delay_alu instid0(VALU_DEP_2)
	v_and_or_b32 v4, 0x1ff, v5, v4
	v_lshrrev_b32_e32 v9, 8, v3
	v_bfe_u32 v11, v3, 20, 11
	v_bfe_u32 v14, v5, 20, 11
	v_cmp_ne_u32_e32 vcc_lo, 0, v2
	v_lshrrev_b32_e32 v10, 8, v5
	v_lshrrev_b32_e32 v5, 16, v5
	v_sub_nc_u32_e32 v15, 0x3f1, v11
	v_sub_nc_u32_e32 v16, 0x3f1, v14
	s_wait_alu 0xfffd
	v_cndmask_b32_e64 v2, 0, 1, vcc_lo
	v_cmp_ne_u32_e32 vcc_lo, 0, v4
	v_add_nc_u32_e32 v14, 0xfffffc10, v14
	s_delay_alu instid0(VALU_DEP_3)
	v_and_or_b32 v17, 0xffe, v9, v2
	s_wait_alu 0xfffd
	v_cndmask_b32_e64 v4, 0, 1, vcc_lo
	v_med3_i32 v2, v15, 0, 13
	v_med3_i32 v15, v16, 0, 13
	v_or_b32_e32 v16, 0x1000, v17
	s_delay_alu instid0(VALU_DEP_4) | instskip(SKIP_1) | instid1(VALU_DEP_3)
	v_and_or_b32 v4, 0xffe, v10, v4
	v_mad_co_u64_u32 v[9:10], null, s4, v50, 0
	v_lshrrev_b32_e32 v19, v2, v16
	s_delay_alu instid0(VALU_DEP_3) | instskip(NEXT) | instid1(VALU_DEP_2)
	v_or_b32_e32 v18, 0x1000, v4
	v_lshlrev_b32_e32 v21, v2, v19
	s_delay_alu instid0(VALU_DEP_2) | instskip(SKIP_1) | instid1(VALU_DEP_3)
	v_lshrrev_b32_e32 v20, v15, v18
	v_mov_b32_e32 v2, v10
	v_cmp_ne_u32_e32 vcc_lo, v21, v16
	s_delay_alu instid0(VALU_DEP_3) | instskip(SKIP_3) | instid1(VALU_DEP_3)
	v_lshlrev_b32_e32 v10, v15, v20
	v_add_nc_u32_e32 v15, 0xfffffc10, v11
	s_wait_alu 0xfffd
	v_cndmask_b32_e64 v16, 0, 1, vcc_lo
	v_cmp_ne_u32_e32 vcc_lo, v10, v18
	v_mad_co_u64_u32 v[10:11], null, s5, v50, v[2:3]
	v_lshl_or_b32 v2, v15, 12, v17
	s_delay_alu instid0(VALU_DEP_4)
	v_or_b32_e32 v11, v19, v16
	s_wait_alu 0xfffd
	v_cndmask_b32_e64 v18, 0, 1, vcc_lo
	v_cmp_gt_i32_e32 vcc_lo, 1, v15
	v_lshl_or_b32 v16, v14, 12, v4
	v_lshrrev_b32_e32 v3, 16, v3
	s_delay_alu instid0(VALU_DEP_4)
	v_or_b32_e32 v18, v20, v18
	s_wait_alu 0xfffd
	v_cndmask_b32_e32 v2, v2, v11, vcc_lo
	v_cmp_gt_i32_e32 vcc_lo, 1, v14
	s_wait_alu 0xfffd
	v_cndmask_b32_e32 v11, v16, v18, vcc_lo
	v_cmp_ne_u32_e32 vcc_lo, 0, v17
	s_delay_alu instid0(VALU_DEP_2)
	v_and_b32_e32 v18, 7, v11
	s_wait_alu 0xfffd
	v_cndmask_b32_e64 v16, 0, 1, vcc_lo
	v_cmp_ne_u32_e32 vcc_lo, 0, v4
	v_lshrrev_b32_e32 v11, 2, v11
	v_cmp_lt_i32_e64 s1, 5, v18
	s_delay_alu instid0(VALU_DEP_4)
	v_lshl_or_b32 v16, v16, 9, 0x7c00
	v_and_b32_e32 v17, 7, v2
	s_wait_alu 0xfffd
	v_cndmask_b32_e64 v4, 0, 1, vcc_lo
	v_lshrrev_b32_e32 v2, 2, v2
	v_cmp_eq_u32_e64 s2, 3, v18
	v_cmp_lt_i32_e32 vcc_lo, 5, v17
	v_cmp_eq_u32_e64 s0, 3, v17
	v_lshl_or_b32 v4, v4, 9, 0x7c00
	s_delay_alu instid0(VALU_DEP_2)
	s_or_b32 vcc_lo, s0, vcc_lo
	s_wait_alu 0xfffe
	v_add_co_ci_u32_e32 v2, vcc_lo, 0, v2, vcc_lo
	s_or_b32 vcc_lo, s2, s1
	s_wait_alu 0xfffe
	v_add_co_ci_u32_e32 v11, vcc_lo, 0, v11, vcc_lo
	v_cmp_gt_i32_e32 vcc_lo, 31, v15
	s_wait_alu 0xfffd
	v_cndmask_b32_e32 v2, 0x7c00, v2, vcc_lo
	v_cmp_gt_i32_e32 vcc_lo, 31, v14
	s_wait_alu 0xfffd
	v_cndmask_b32_e32 v11, 0x7c00, v11, vcc_lo
	v_cmp_eq_u32_e32 vcc_lo, 0x40f, v15
	s_wait_alu 0xfffd
	v_cndmask_b32_e32 v2, v2, v16, vcc_lo
	v_cmp_eq_u32_e32 vcc_lo, 0x40f, v14
	s_wait_alu 0xfffd
	v_cndmask_b32_e32 v4, v11, v4, vcc_lo
	s_delay_alu instid0(VALU_DEP_3) | instskip(SKIP_1) | instid1(VALU_DEP_3)
	v_and_or_b32 v11, 0x8000, v3, v2
	v_lshlrev_b64_e32 v[2:3], 2, v[9:10]
	v_and_or_b32 v4, 0x8000, v5, v4
	s_delay_alu instid0(VALU_DEP_3) | instskip(NEXT) | instid1(VALU_DEP_3)
	v_and_b32_e32 v5, 0xffff, v11
	v_add_co_u32 v2, vcc_lo, v7, v2
	s_wait_alu 0xfffd
	s_delay_alu instid0(VALU_DEP_4) | instskip(NEXT) | instid1(VALU_DEP_3)
	v_add_co_ci_u32_e32 v3, vcc_lo, v8, v3, vcc_lo
	v_lshl_or_b32 v4, v4, 16, v5
	global_store_b32 v[2:3], v4, off
	global_load_b32 v2, v[48:49], off offset:3752
	s_wait_dscnt 0x2
	v_lshrrev_b32_e32 v3, 16, v6
	s_wait_loadcnt 0x0
	v_lshrrev_b32_e32 v4, 16, v2
	s_delay_alu instid0(VALU_DEP_1) | instskip(SKIP_1) | instid1(VALU_DEP_2)
	v_mul_f16_e32 v5, v3, v4
	v_mul_f16_e32 v4, v6, v4
	v_fmac_f16_e32 v5, v6, v2
	s_delay_alu instid0(VALU_DEP_2) | instskip(NEXT) | instid1(VALU_DEP_2)
	v_fma_f16 v2, v2, v3, -v4
	v_cvt_f32_f16_e32 v3, v5
	s_delay_alu instid0(VALU_DEP_2) | instskip(NEXT) | instid1(VALU_DEP_2)
	v_cvt_f32_f16_e32 v4, v2
	v_cvt_f64_f32_e32 v[2:3], v3
	s_delay_alu instid0(VALU_DEP_2) | instskip(NEXT) | instid1(VALU_DEP_2)
	v_cvt_f64_f32_e32 v[4:5], v4
	v_mul_f64_e32 v[2:3], s[8:9], v[2:3]
	s_delay_alu instid0(VALU_DEP_2) | instskip(NEXT) | instid1(VALU_DEP_2)
	v_mul_f64_e32 v[4:5], s[8:9], v[4:5]
	v_and_or_b32 v2, 0x1ff, v3, v2
	s_delay_alu instid0(VALU_DEP_2)
	v_and_or_b32 v4, 0x1ff, v5, v4
	v_lshrrev_b32_e32 v6, 8, v3
	v_bfe_u32 v7, v3, 20, 11
	v_lshrrev_b32_e32 v8, 8, v5
	v_cmp_ne_u32_e32 vcc_lo, 0, v2
	v_bfe_u32 v9, v5, 20, 11
	v_lshrrev_b32_e32 v3, 16, v3
	v_sub_nc_u32_e32 v10, 0x3f1, v7
	v_lshrrev_b32_e32 v5, 16, v5
	s_wait_alu 0xfffd
	v_cndmask_b32_e64 v2, 0, 1, vcc_lo
	v_cmp_ne_u32_e32 vcc_lo, 0, v4
	s_delay_alu instid0(VALU_DEP_2) | instskip(SKIP_4) | instid1(VALU_DEP_3)
	v_and_or_b32 v2, 0xffe, v6, v2
	s_wait_alu 0xfffd
	v_cndmask_b32_e64 v4, 0, 1, vcc_lo
	v_sub_nc_u32_e32 v6, 0x3f1, v9
	v_add_nc_u32_e32 v9, 0xfffffc10, v9
	v_and_or_b32 v4, 0xffe, v8, v4
	v_med3_i32 v8, v10, 0, 13
	v_or_b32_e32 v10, 0x1000, v2
	v_med3_i32 v6, v6, 0, 13
	s_delay_alu instid0(VALU_DEP_4) | instskip(NEXT) | instid1(VALU_DEP_3)
	v_or_b32_e32 v11, 0x1000, v4
	v_lshrrev_b32_e32 v14, v8, v10
	s_delay_alu instid0(VALU_DEP_2) | instskip(NEXT) | instid1(VALU_DEP_2)
	v_lshrrev_b32_e32 v15, v6, v11
	v_lshlrev_b32_e32 v8, v8, v14
	s_delay_alu instid0(VALU_DEP_2) | instskip(NEXT) | instid1(VALU_DEP_2)
	v_lshlrev_b32_e32 v6, v6, v15
	v_cmp_ne_u32_e32 vcc_lo, v8, v10
	s_wait_alu 0xfffd
	v_cndmask_b32_e64 v8, 0, 1, vcc_lo
	s_delay_alu instid0(VALU_DEP_3) | instskip(SKIP_1) | instid1(VALU_DEP_3)
	v_cmp_ne_u32_e32 vcc_lo, v6, v11
	v_lshl_or_b32 v11, v9, 12, v4
	v_or_b32_e32 v8, v14, v8
	v_add_nc_u32_e32 v7, 0xfffffc10, v7
	s_wait_alu 0xfffd
	v_cndmask_b32_e64 v6, 0, 1, vcc_lo
	s_delay_alu instid0(VALU_DEP_2) | instskip(SKIP_1) | instid1(VALU_DEP_3)
	v_lshl_or_b32 v10, v7, 12, v2
	v_cmp_gt_i32_e32 vcc_lo, 1, v7
	v_or_b32_e32 v6, v15, v6
	s_wait_alu 0xfffd
	s_delay_alu instid0(VALU_DEP_3) | instskip(SKIP_1) | instid1(VALU_DEP_2)
	v_cndmask_b32_e32 v8, v10, v8, vcc_lo
	v_cmp_gt_i32_e32 vcc_lo, 1, v9
	v_and_b32_e32 v10, 7, v8
	s_wait_alu 0xfffd
	v_cndmask_b32_e32 v6, v11, v6, vcc_lo
	v_cmp_ne_u32_e32 vcc_lo, 0, v2
	v_lshrrev_b32_e32 v8, 2, v8
	v_cmp_eq_u32_e64 s0, 3, v10
	s_wait_alu 0xfffd
	v_cndmask_b32_e64 v2, 0, 1, vcc_lo
	v_cmp_ne_u32_e32 vcc_lo, 0, v4
	s_delay_alu instid0(VALU_DEP_2) | instskip(SKIP_3) | instid1(VALU_DEP_2)
	v_lshl_or_b32 v2, v2, 9, 0x7c00
	s_wait_alu 0xfffd
	v_cndmask_b32_e64 v4, 0, 1, vcc_lo
	v_cmp_lt_i32_e32 vcc_lo, 5, v10
	v_lshl_or_b32 v4, v4, 9, 0x7c00
	s_or_b32 vcc_lo, s0, vcc_lo
	s_mul_i32 s0, s5, 0xfffff190
	s_wait_alu 0xfffe
	v_add_co_ci_u32_e32 v8, vcc_lo, 0, v8, vcc_lo
	s_sub_co_i32 s0, s0, s4
	s_wait_alu 0xfffe
	v_add_nc_u32_e32 v1, s0, v1
	v_and_b32_e32 v11, 7, v6
	v_lshrrev_b32_e32 v6, 2, v6
	s_delay_alu instid0(VALU_DEP_2) | instskip(SKIP_1) | instid1(VALU_DEP_1)
	v_cmp_lt_i32_e64 s1, 5, v11
	v_cmp_eq_u32_e64 s2, 3, v11
	s_or_b32 vcc_lo, s2, s1
	s_wait_alu 0xfffe
	v_add_co_ci_u32_e32 v6, vcc_lo, 0, v6, vcc_lo
	v_cmp_gt_i32_e32 vcc_lo, 31, v7
	s_wait_alu 0xfffd
	v_cndmask_b32_e32 v8, 0x7c00, v8, vcc_lo
	v_cmp_gt_i32_e32 vcc_lo, 31, v9
	s_wait_alu 0xfffd
	v_cndmask_b32_e32 v6, 0x7c00, v6, vcc_lo
	v_cmp_eq_u32_e32 vcc_lo, 0x40f, v7
	s_wait_alu 0xfffd
	v_cndmask_b32_e32 v2, v8, v2, vcc_lo
	v_cmp_eq_u32_e32 vcc_lo, 0x40f, v9
	s_delay_alu instid0(VALU_DEP_2) | instskip(SKIP_2) | instid1(VALU_DEP_2)
	v_and_or_b32 v2, 0x8000, v3, v2
	s_wait_alu 0xfffd
	v_cndmask_b32_e32 v4, v6, v4, vcc_lo
	v_and_b32_e32 v2, 0xffff, v2
	s_delay_alu instid0(VALU_DEP_2) | instskip(NEXT) | instid1(VALU_DEP_1)
	v_and_or_b32 v3, 0x8000, v5, v4
	v_lshl_or_b32 v2, v3, 16, v2
	s_wait_dscnt 0x1
	v_lshrrev_b32_e32 v3, 16, v12
	global_store_b32 v[0:1], v2, off
	global_load_b32 v2, v[48:49], off offset:5712
	s_wait_loadcnt 0x0
	v_lshrrev_b32_e32 v4, 16, v2
	s_delay_alu instid0(VALU_DEP_1) | instskip(SKIP_1) | instid1(VALU_DEP_2)
	v_mul_f16_e32 v5, v3, v4
	v_mul_f16_e32 v4, v12, v4
	v_fmac_f16_e32 v5, v12, v2
	s_delay_alu instid0(VALU_DEP_2) | instskip(NEXT) | instid1(VALU_DEP_2)
	v_fma_f16 v2, v2, v3, -v4
	v_cvt_f32_f16_e32 v3, v5
	s_delay_alu instid0(VALU_DEP_2) | instskip(NEXT) | instid1(VALU_DEP_2)
	v_cvt_f32_f16_e32 v4, v2
	v_cvt_f64_f32_e32 v[2:3], v3
	s_delay_alu instid0(VALU_DEP_2) | instskip(NEXT) | instid1(VALU_DEP_2)
	v_cvt_f64_f32_e32 v[4:5], v4
	v_mul_f64_e32 v[2:3], s[8:9], v[2:3]
	s_delay_alu instid0(VALU_DEP_2) | instskip(NEXT) | instid1(VALU_DEP_2)
	v_mul_f64_e32 v[4:5], s[8:9], v[4:5]
	v_and_or_b32 v2, 0x1ff, v3, v2
	s_delay_alu instid0(VALU_DEP_2)
	v_and_or_b32 v4, 0x1ff, v5, v4
	v_lshrrev_b32_e32 v6, 8, v3
	v_bfe_u32 v7, v3, 20, 11
	v_lshrrev_b32_e32 v8, 8, v5
	v_cmp_ne_u32_e32 vcc_lo, 0, v2
	v_bfe_u32 v9, v5, 20, 11
	v_lshrrev_b32_e32 v3, 16, v3
	v_sub_nc_u32_e32 v10, 0x3f1, v7
	v_add_nc_u32_e32 v7, 0xfffffc10, v7
	s_wait_alu 0xfffd
	v_cndmask_b32_e64 v2, 0, 1, vcc_lo
	v_cmp_ne_u32_e32 vcc_lo, 0, v4
	v_lshrrev_b32_e32 v5, 16, v5
	s_delay_alu instid0(VALU_DEP_3) | instskip(SKIP_4) | instid1(VALU_DEP_3)
	v_and_or_b32 v2, 0xffe, v6, v2
	s_wait_alu 0xfffd
	v_cndmask_b32_e64 v4, 0, 1, vcc_lo
	v_sub_nc_u32_e32 v6, 0x3f1, v9
	v_add_nc_u32_e32 v9, 0xfffffc10, v9
	v_and_or_b32 v4, 0xffe, v8, v4
	v_med3_i32 v8, v10, 0, 13
	v_or_b32_e32 v10, 0x1000, v2
	v_med3_i32 v6, v6, 0, 13
	s_delay_alu instid0(VALU_DEP_4) | instskip(NEXT) | instid1(VALU_DEP_3)
	v_or_b32_e32 v11, 0x1000, v4
	v_lshrrev_b32_e32 v12, v8, v10
	s_delay_alu instid0(VALU_DEP_2) | instskip(NEXT) | instid1(VALU_DEP_2)
	v_lshrrev_b32_e32 v14, v6, v11
	v_lshlrev_b32_e32 v8, v8, v12
	s_delay_alu instid0(VALU_DEP_2) | instskip(NEXT) | instid1(VALU_DEP_2)
	v_lshlrev_b32_e32 v6, v6, v14
	v_cmp_ne_u32_e32 vcc_lo, v8, v10
	v_lshl_or_b32 v10, v7, 12, v2
	s_wait_alu 0xfffd
	v_cndmask_b32_e64 v8, 0, 1, vcc_lo
	v_cmp_ne_u32_e32 vcc_lo, v6, v11
	v_lshl_or_b32 v11, v9, 12, v4
	s_delay_alu instid0(VALU_DEP_3) | instskip(SKIP_3) | instid1(VALU_DEP_2)
	v_or_b32_e32 v8, v12, v8
	s_wait_alu 0xfffd
	v_cndmask_b32_e64 v6, 0, 1, vcc_lo
	v_cmp_gt_i32_e32 vcc_lo, 1, v7
	v_or_b32_e32 v6, v14, v6
	s_wait_alu 0xfffd
	v_cndmask_b32_e32 v8, v10, v8, vcc_lo
	v_cmp_gt_i32_e32 vcc_lo, 1, v9
	s_wait_alu 0xfffd
	v_cndmask_b32_e32 v6, v11, v6, vcc_lo
	v_cmp_ne_u32_e32 vcc_lo, 0, v2
	s_delay_alu instid0(VALU_DEP_2)
	v_and_b32_e32 v11, 7, v6
	s_wait_alu 0xfffd
	v_cndmask_b32_e64 v2, 0, 1, vcc_lo
	v_and_b32_e32 v10, 7, v8
	v_cmp_ne_u32_e32 vcc_lo, 0, v4
	v_lshrrev_b32_e32 v8, 2, v8
	v_cmp_lt_i32_e64 s1, 5, v11
	v_cmp_eq_u32_e64 s2, 3, v11
	v_cmp_eq_u32_e64 s0, 3, v10
	s_wait_alu 0xfffd
	v_cndmask_b32_e64 v4, 0, 1, vcc_lo
	v_cmp_lt_i32_e32 vcc_lo, 5, v10
	v_lshrrev_b32_e32 v6, 2, v6
	v_lshl_or_b32 v2, v2, 9, 0x7c00
	s_delay_alu instid0(VALU_DEP_4)
	v_lshl_or_b32 v4, v4, 9, 0x7c00
	s_or_b32 vcc_lo, s0, vcc_lo
	s_wait_alu 0xfffe
	v_add_co_ci_u32_e32 v8, vcc_lo, 0, v8, vcc_lo
	s_or_b32 vcc_lo, s2, s1
	s_wait_alu 0xfffe
	v_add_co_ci_u32_e32 v6, vcc_lo, 0, v6, vcc_lo
	v_cmp_gt_i32_e32 vcc_lo, 31, v7
	s_wait_alu 0xfffd
	v_cndmask_b32_e32 v8, 0x7c00, v8, vcc_lo
	v_cmp_gt_i32_e32 vcc_lo, 31, v9
	s_wait_alu 0xfffd
	v_cndmask_b32_e32 v6, 0x7c00, v6, vcc_lo
	v_cmp_eq_u32_e32 vcc_lo, 0x40f, v7
	s_wait_alu 0xfffd
	v_cndmask_b32_e32 v2, v8, v2, vcc_lo
	v_cmp_eq_u32_e32 vcc_lo, 0x40f, v9
	s_delay_alu instid0(VALU_DEP_2)
	v_and_or_b32 v2, 0x8000, v3, v2
	s_wait_alu 0xfffd
	v_cndmask_b32_e32 v4, v6, v4, vcc_lo
	v_add_co_u32 v0, vcc_lo, v0, s6
	s_wait_alu 0xfffd
	v_add_co_ci_u32_e32 v1, vcc_lo, s7, v1, vcc_lo
	s_delay_alu instid0(VALU_DEP_3) | instskip(SKIP_1) | instid1(VALU_DEP_1)
	v_and_or_b32 v3, 0x8000, v5, v4
	v_and_b32_e32 v2, 0xffff, v2
	v_lshl_or_b32 v2, v3, 16, v2
	s_wait_dscnt 0x0
	v_lshrrev_b32_e32 v3, 16, v13
	global_store_b32 v[0:1], v2, off
	global_load_b32 v2, v[48:49], off offset:7672
	s_wait_loadcnt 0x0
	v_lshrrev_b32_e32 v4, 16, v2
	s_delay_alu instid0(VALU_DEP_1) | instskip(SKIP_1) | instid1(VALU_DEP_2)
	v_mul_f16_e32 v5, v3, v4
	v_mul_f16_e32 v4, v13, v4
	v_fmac_f16_e32 v5, v13, v2
	s_delay_alu instid0(VALU_DEP_2) | instskip(NEXT) | instid1(VALU_DEP_2)
	v_fma_f16 v2, v2, v3, -v4
	v_cvt_f32_f16_e32 v3, v5
	s_delay_alu instid0(VALU_DEP_2) | instskip(NEXT) | instid1(VALU_DEP_2)
	v_cvt_f32_f16_e32 v4, v2
	v_cvt_f64_f32_e32 v[2:3], v3
	s_delay_alu instid0(VALU_DEP_2) | instskip(NEXT) | instid1(VALU_DEP_2)
	v_cvt_f64_f32_e32 v[4:5], v4
	v_mul_f64_e32 v[2:3], s[8:9], v[2:3]
	s_delay_alu instid0(VALU_DEP_2) | instskip(NEXT) | instid1(VALU_DEP_2)
	v_mul_f64_e32 v[4:5], s[8:9], v[4:5]
	v_and_or_b32 v2, 0x1ff, v3, v2
	s_delay_alu instid0(VALU_DEP_2)
	v_and_or_b32 v4, 0x1ff, v5, v4
	v_lshrrev_b32_e32 v6, 8, v3
	v_bfe_u32 v7, v3, 20, 11
	v_lshrrev_b32_e32 v8, 8, v5
	v_cmp_ne_u32_e32 vcc_lo, 0, v2
	v_bfe_u32 v9, v5, 20, 11
	v_lshrrev_b32_e32 v3, 16, v3
	v_sub_nc_u32_e32 v10, 0x3f1, v7
	v_add_nc_u32_e32 v7, 0xfffffc10, v7
	s_wait_alu 0xfffd
	v_cndmask_b32_e64 v2, 0, 1, vcc_lo
	v_cmp_ne_u32_e32 vcc_lo, 0, v4
	v_lshrrev_b32_e32 v5, 16, v5
	s_delay_alu instid0(VALU_DEP_3) | instskip(SKIP_4) | instid1(VALU_DEP_3)
	v_and_or_b32 v2, 0xffe, v6, v2
	s_wait_alu 0xfffd
	v_cndmask_b32_e64 v4, 0, 1, vcc_lo
	v_sub_nc_u32_e32 v6, 0x3f1, v9
	v_add_nc_u32_e32 v9, 0xfffffc10, v9
	v_and_or_b32 v4, 0xffe, v8, v4
	v_med3_i32 v8, v10, 0, 13
	v_or_b32_e32 v10, 0x1000, v2
	v_med3_i32 v6, v6, 0, 13
	s_delay_alu instid0(VALU_DEP_4) | instskip(NEXT) | instid1(VALU_DEP_3)
	v_or_b32_e32 v11, 0x1000, v4
	v_lshrrev_b32_e32 v12, v8, v10
	s_delay_alu instid0(VALU_DEP_2) | instskip(NEXT) | instid1(VALU_DEP_2)
	v_lshrrev_b32_e32 v13, v6, v11
	v_lshlrev_b32_e32 v8, v8, v12
	s_delay_alu instid0(VALU_DEP_2) | instskip(NEXT) | instid1(VALU_DEP_2)
	v_lshlrev_b32_e32 v6, v6, v13
	v_cmp_ne_u32_e32 vcc_lo, v8, v10
	v_lshl_or_b32 v10, v7, 12, v2
	s_wait_alu 0xfffd
	v_cndmask_b32_e64 v8, 0, 1, vcc_lo
	v_cmp_ne_u32_e32 vcc_lo, v6, v11
	v_lshl_or_b32 v11, v9, 12, v4
	s_delay_alu instid0(VALU_DEP_3) | instskip(SKIP_3) | instid1(VALU_DEP_2)
	v_or_b32_e32 v8, v12, v8
	s_wait_alu 0xfffd
	v_cndmask_b32_e64 v6, 0, 1, vcc_lo
	v_cmp_gt_i32_e32 vcc_lo, 1, v7
	v_or_b32_e32 v6, v13, v6
	s_wait_alu 0xfffd
	v_cndmask_b32_e32 v8, v10, v8, vcc_lo
	v_cmp_gt_i32_e32 vcc_lo, 1, v9
	s_delay_alu instid0(VALU_DEP_2)
	v_and_b32_e32 v10, 7, v8
	s_wait_alu 0xfffd
	v_cndmask_b32_e32 v6, v11, v6, vcc_lo
	v_cmp_ne_u32_e32 vcc_lo, 0, v2
	v_lshrrev_b32_e32 v8, 2, v8
	v_cmp_eq_u32_e64 s0, 3, v10
	s_delay_alu instid0(VALU_DEP_4)
	v_and_b32_e32 v11, 7, v6
	s_wait_alu 0xfffd
	v_cndmask_b32_e64 v2, 0, 1, vcc_lo
	v_cmp_ne_u32_e32 vcc_lo, 0, v4
	v_lshrrev_b32_e32 v6, 2, v6
	v_cmp_lt_i32_e64 s1, 5, v11
	v_cmp_eq_u32_e64 s2, 3, v11
	s_wait_alu 0xfffd
	v_cndmask_b32_e64 v4, 0, 1, vcc_lo
	v_cmp_lt_i32_e32 vcc_lo, 5, v10
	v_lshl_or_b32 v2, v2, 9, 0x7c00
	s_delay_alu instid0(VALU_DEP_3)
	v_lshl_or_b32 v4, v4, 9, 0x7c00
	s_or_b32 vcc_lo, s0, vcc_lo
	s_wait_alu 0xfffe
	v_add_co_ci_u32_e32 v8, vcc_lo, 0, v8, vcc_lo
	s_or_b32 vcc_lo, s2, s1
	s_wait_alu 0xfffe
	v_add_co_ci_u32_e32 v6, vcc_lo, 0, v6, vcc_lo
	v_cmp_gt_i32_e32 vcc_lo, 31, v7
	s_wait_alu 0xfffd
	v_cndmask_b32_e32 v8, 0x7c00, v8, vcc_lo
	v_cmp_gt_i32_e32 vcc_lo, 31, v9
	s_wait_alu 0xfffd
	v_cndmask_b32_e32 v6, 0x7c00, v6, vcc_lo
	v_cmp_eq_u32_e32 vcc_lo, 0x40f, v7
	s_wait_alu 0xfffd
	v_cndmask_b32_e32 v2, v8, v2, vcc_lo
	v_cmp_eq_u32_e32 vcc_lo, 0x40f, v9
	s_delay_alu instid0(VALU_DEP_2)
	v_and_or_b32 v2, 0x8000, v3, v2
	s_wait_alu 0xfffd
	v_cndmask_b32_e32 v4, v6, v4, vcc_lo
	v_add_co_u32 v0, vcc_lo, v0, s6
	s_wait_alu 0xfffd
	v_add_co_ci_u32_e32 v1, vcc_lo, s7, v1, vcc_lo
	s_delay_alu instid0(VALU_DEP_3) | instskip(SKIP_1) | instid1(VALU_DEP_1)
	v_and_or_b32 v3, 0x8000, v5, v4
	v_and_b32_e32 v2, 0xffff, v2
	v_lshl_or_b32 v2, v3, 16, v2
	global_store_b32 v[0:1], v2, off
.LBB0_25:
	s_nop 0
	s_sendmsg sendmsg(MSG_DEALLOC_VGPRS)
	s_endpgm
	.section	.rodata,"a",@progbits
	.p2align	6, 0x0
	.amdhsa_kernel bluestein_single_back_len1960_dim1_half_op_CI_CI
		.amdhsa_group_segment_fixed_size 7840
		.amdhsa_private_segment_fixed_size 84
		.amdhsa_kernarg_size 104
		.amdhsa_user_sgpr_count 2
		.amdhsa_user_sgpr_dispatch_ptr 0
		.amdhsa_user_sgpr_queue_ptr 0
		.amdhsa_user_sgpr_kernarg_segment_ptr 1
		.amdhsa_user_sgpr_dispatch_id 0
		.amdhsa_user_sgpr_private_segment_size 0
		.amdhsa_wavefront_size32 1
		.amdhsa_uses_dynamic_stack 0
		.amdhsa_enable_private_segment 1
		.amdhsa_system_sgpr_workgroup_id_x 1
		.amdhsa_system_sgpr_workgroup_id_y 0
		.amdhsa_system_sgpr_workgroup_id_z 0
		.amdhsa_system_sgpr_workgroup_info 0
		.amdhsa_system_vgpr_workitem_id 0
		.amdhsa_next_free_vgpr 256
		.amdhsa_next_free_sgpr 17
		.amdhsa_reserve_vcc 1
		.amdhsa_float_round_mode_32 0
		.amdhsa_float_round_mode_16_64 0
		.amdhsa_float_denorm_mode_32 3
		.amdhsa_float_denorm_mode_16_64 3
		.amdhsa_fp16_overflow 0
		.amdhsa_workgroup_processor_mode 1
		.amdhsa_memory_ordered 1
		.amdhsa_forward_progress 0
		.amdhsa_round_robin_scheduling 0
		.amdhsa_exception_fp_ieee_invalid_op 0
		.amdhsa_exception_fp_denorm_src 0
		.amdhsa_exception_fp_ieee_div_zero 0
		.amdhsa_exception_fp_ieee_overflow 0
		.amdhsa_exception_fp_ieee_underflow 0
		.amdhsa_exception_fp_ieee_inexact 0
		.amdhsa_exception_int_div_zero 0
	.end_amdhsa_kernel
	.text
.Lfunc_end0:
	.size	bluestein_single_back_len1960_dim1_half_op_CI_CI, .Lfunc_end0-bluestein_single_back_len1960_dim1_half_op_CI_CI
                                        ; -- End function
	.section	.AMDGPU.csdata,"",@progbits
; Kernel info:
; codeLenInByte = 69048
; NumSgprs: 19
; NumVgprs: 256
; ScratchSize: 84
; MemoryBound: 0
; FloatMode: 240
; IeeeMode: 1
; LDSByteSize: 7840 bytes/workgroup (compile time only)
; SGPRBlocks: 2
; VGPRBlocks: 31
; NumSGPRsForWavesPerEU: 19
; NumVGPRsForWavesPerEU: 256
; Occupancy: 5
; WaveLimiterHint : 1
; COMPUTE_PGM_RSRC2:SCRATCH_EN: 1
; COMPUTE_PGM_RSRC2:USER_SGPR: 2
; COMPUTE_PGM_RSRC2:TRAP_HANDLER: 0
; COMPUTE_PGM_RSRC2:TGID_X_EN: 1
; COMPUTE_PGM_RSRC2:TGID_Y_EN: 0
; COMPUTE_PGM_RSRC2:TGID_Z_EN: 0
; COMPUTE_PGM_RSRC2:TIDIG_COMP_CNT: 0
	.text
	.p2alignl 7, 3214868480
	.fill 96, 4, 3214868480
	.type	__hip_cuid_999d66a6f6459576,@object ; @__hip_cuid_999d66a6f6459576
	.section	.bss,"aw",@nobits
	.globl	__hip_cuid_999d66a6f6459576
__hip_cuid_999d66a6f6459576:
	.byte	0                               ; 0x0
	.size	__hip_cuid_999d66a6f6459576, 1

	.ident	"AMD clang version 19.0.0git (https://github.com/RadeonOpenCompute/llvm-project roc-6.4.0 25133 c7fe45cf4b819c5991fe208aaa96edf142730f1d)"
	.section	".note.GNU-stack","",@progbits
	.addrsig
	.addrsig_sym __hip_cuid_999d66a6f6459576
	.amdgpu_metadata
---
amdhsa.kernels:
  - .args:
      - .actual_access:  read_only
        .address_space:  global
        .offset:         0
        .size:           8
        .value_kind:     global_buffer
      - .actual_access:  read_only
        .address_space:  global
        .offset:         8
        .size:           8
        .value_kind:     global_buffer
      - .actual_access:  read_only
        .address_space:  global
        .offset:         16
        .size:           8
        .value_kind:     global_buffer
      - .actual_access:  read_only
        .address_space:  global
        .offset:         24
        .size:           8
        .value_kind:     global_buffer
      - .actual_access:  read_only
        .address_space:  global
        .offset:         32
        .size:           8
        .value_kind:     global_buffer
      - .offset:         40
        .size:           8
        .value_kind:     by_value
      - .address_space:  global
        .offset:         48
        .size:           8
        .value_kind:     global_buffer
      - .address_space:  global
        .offset:         56
        .size:           8
        .value_kind:     global_buffer
      - .address_space:  global
        .offset:         64
        .size:           8
        .value_kind:     global_buffer
      - .address_space:  global
        .offset:         72
        .size:           8
        .value_kind:     global_buffer
      - .offset:         80
        .size:           4
        .value_kind:     by_value
      - .address_space:  global
        .offset:         88
        .size:           8
        .value_kind:     global_buffer
      - .address_space:  global
        .offset:         96
        .size:           8
        .value_kind:     global_buffer
    .group_segment_fixed_size: 7840
    .kernarg_segment_align: 8
    .kernarg_segment_size: 104
    .language:       OpenCL C
    .language_version:
      - 2
      - 0
    .max_flat_workgroup_size: 56
    .name:           bluestein_single_back_len1960_dim1_half_op_CI_CI
    .private_segment_fixed_size: 84
    .sgpr_count:     19
    .sgpr_spill_count: 0
    .symbol:         bluestein_single_back_len1960_dim1_half_op_CI_CI.kd
    .uniform_work_group_size: 1
    .uses_dynamic_stack: false
    .vgpr_count:     256
    .vgpr_spill_count: 20
    .wavefront_size: 32
    .workgroup_processor_mode: 1
amdhsa.target:   amdgcn-amd-amdhsa--gfx1201
amdhsa.version:
  - 1
  - 2
...

	.end_amdgpu_metadata
